;; amdgpu-corpus repo=ROCm/rocFFT kind=compiled arch=gfx950 opt=O3
	.text
	.amdgcn_target "amdgcn-amd-amdhsa--gfx950"
	.amdhsa_code_object_version 6
	.protected	bluestein_single_fwd_len3888_dim1_sp_op_CI_CI ; -- Begin function bluestein_single_fwd_len3888_dim1_sp_op_CI_CI
	.globl	bluestein_single_fwd_len3888_dim1_sp_op_CI_CI
	.p2align	8
	.type	bluestein_single_fwd_len3888_dim1_sp_op_CI_CI,@function
bluestein_single_fwd_len3888_dim1_sp_op_CI_CI: ; @bluestein_single_fwd_len3888_dim1_sp_op_CI_CI
; %bb.0:
	s_load_dwordx4 s[4:7], s[0:1], 0x28
	v_mul_u32_u24_e32 v1, 0x195, v0
	v_lshrrev_b32_e32 v1, 17, v1
	v_mov_b32_e32 v115, 0
	v_add_u32_e32 v116, s2, v1
	v_mov_b32_e32 v117, v115
	s_waitcnt lgkmcnt(0)
	v_cmp_gt_u64_e32 vcc, s[4:5], v[116:117]
	s_and_saveexec_b64 s[2:3], vcc
	s_cbranch_execz .LBB0_17
; %bb.1:
	s_load_dwordx2 s[12:13], s[0:1], 0x0
	s_load_dwordx2 s[14:15], s[0:1], 0x38
	v_mul_lo_u16_e32 v1, 0x144, v1
	v_sub_u16_e32 v114, v0, v1
	s_movk_i32 s2, 0xf2
	s_movk_i32 s4, 0xf3
	v_cmp_lt_u16_e64 s[2:3], s2, v114
	v_cmp_gt_u16_e64 s[4:5], s4, v114
	v_lshlrev_b32_e32 v112, 3, v114
	s_and_saveexec_b64 s[16:17], s[4:5]
	s_cbranch_execz .LBB0_3
; %bb.2:
	s_load_dwordx2 s[8:9], s[0:1], 0x18
	v_mov_b32_e32 v0, s6
	v_mov_b32_e32 v1, s7
	;; [unrolled: 1-line block ×4, first 2 shown]
	s_waitcnt lgkmcnt(0)
	s_load_dwordx4 s[8:11], s[8:9], 0x0
	s_waitcnt lgkmcnt(0)
	v_mad_u64_u32 v[2:3], s[6:7], s10, v116, 0
	v_mad_u64_u32 v[4:5], s[6:7], s8, v114, 0
	v_mov_b32_e32 v6, v3
	v_mov_b32_e32 v8, v5
	v_mad_u64_u32 v[6:7], s[6:7], s11, v116, v[6:7]
	v_mov_b32_e32 v3, v6
	v_mad_u64_u32 v[6:7], s[6:7], s9, v114, v[8:9]
	v_mov_b32_e32 v5, v6
	v_lshl_add_u64 v[0:1], v[2:3], 3, v[0:1]
	v_lshl_add_u64 v[4:5], v[4:5], 3, v[0:1]
	v_mad_u64_u32 v[10:11], s[6:7], s8, v66, v[4:5]
	s_mul_i32 s6, s9, 0x798
	s_nop 0
	v_add_u32_e32 v11, s6, v11
	v_lshl_add_u64 v[2:3], s[12:13], 0, v[112:113]
	v_mad_u64_u32 v[12:13], s[10:11], s8, v66, v[10:11]
	s_movk_i32 s7, 0x1000
	v_add_u32_e32 v13, s6, v13
	v_add_co_u32_e32 v16, vcc, s7, v2
	v_mad_u64_u32 v[14:15], s[10:11], s8, v66, v[12:13]
	s_nop 0
	v_addc_co_u32_e32 v17, vcc, 0, v3, vcc
	s_movk_i32 s7, 0x2000
	v_add_u32_e32 v15, s6, v15
	v_add_co_u32_e32 v18, vcc, s7, v2
	global_load_dwordx2 v[0:1], v[4:5], off
	global_load_dwordx2 v[6:7], v112, s[12:13]
	global_load_dwordx2 v[8:9], v112, s[12:13] offset:1944
	s_nop 0
	global_load_dwordx2 v[4:5], v112, s[12:13] offset:3888
	v_addc_co_u32_e32 v19, vcc, 0, v3, vcc
	global_load_dwordx2 v[24:25], v[16:17], off offset:1736
	global_load_dwordx2 v[26:27], v[16:17], off offset:3680
	;; [unrolled: 1-line block ×4, first 2 shown]
	v_mad_u64_u32 v[16:17], s[10:11], s8, v66, v[14:15]
	v_add_u32_e32 v17, s6, v17
	global_load_dwordx2 v[18:19], v[10:11], off
	global_load_dwordx2 v[32:33], v[12:13], off
	;; [unrolled: 1-line block ×4, first 2 shown]
	v_mad_u64_u32 v[10:11], s[10:11], s8, v66, v[16:17]
	v_add_u32_e32 v11, s6, v11
	global_load_dwordx2 v[12:13], v[10:11], off
	v_mad_u64_u32 v[10:11], s[10:11], s8, v66, v[10:11]
	v_add_u32_e32 v11, s6, v11
	global_load_dwordx2 v[14:15], v[10:11], off
	v_mad_u64_u32 v[10:11], s[10:11], s8, v66, v[10:11]
	v_add_u32_e32 v11, s6, v11
	s_movk_i32 s9, 0x3000
	global_load_dwordx2 v[16:17], v[10:11], off
	v_mad_u64_u32 v[10:11], s[10:11], s8, v66, v[10:11]
	v_add_co_u32_e32 v20, vcc, s9, v2
	v_add_u32_e32 v11, s6, v11
	s_nop 0
	v_addc_co_u32_e32 v21, vcc, 0, v3, vcc
	global_load_dwordx2 v[38:39], v[10:11], off
	v_mad_u64_u32 v[10:11], s[10:11], s8, v66, v[10:11]
	v_add_co_u32_e32 v22, vcc, 0x7000, v2
	v_add_u32_e32 v11, s6, v11
	s_nop 0
	v_addc_co_u32_e32 v23, vcc, 0, v3, vcc
	global_load_dwordx2 v[40:41], v[10:11], off
	s_movk_i32 s7, 0x4000
	v_mad_u64_u32 v[10:11], s[10:11], s8, v66, v[10:11]
	v_add_co_u32_e32 v42, vcc, s7, v2
	v_add_u32_e32 v11, s6, v11
	s_nop 0
	v_addc_co_u32_e32 v43, vcc, 0, v3, vcc
	global_load_dwordx2 v[44:45], v[20:21], off offset:1320
	global_load_dwordx2 v[46:47], v[10:11], off
	global_load_dwordx2 v[48:49], v[20:21], off offset:3264
	global_load_dwordx2 v[50:51], v[42:43], off offset:1112
	;; [unrolled: 1-line block ×3, first 2 shown]
	v_mad_u64_u32 v[10:11], s[10:11], s8, v66, v[10:11]
	v_add_u32_e32 v11, s6, v11
	global_load_dwordx2 v[20:21], v[10:11], off
	s_movk_i32 s7, 0x5000
	v_mad_u64_u32 v[10:11], s[10:11], s8, v66, v[10:11]
	v_add_co_u32_e32 v42, vcc, s7, v2
	v_add_u32_e32 v11, s6, v11
	s_nop 0
	v_addc_co_u32_e32 v43, vcc, 0, v3, vcc
	global_load_dwordx2 v[54:55], v[10:11], off
	global_load_dwordx2 v[56:57], v[42:43], off offset:904
	global_load_dwordx2 v[58:59], v[42:43], off offset:2848
	v_mad_u64_u32 v[10:11], s[10:11], s8, v66, v[10:11]
	v_add_u32_e32 v11, s6, v11
	s_movk_i32 s7, 0x6000
	global_load_dwordx2 v[42:43], v[10:11], off
	v_add_co_u32_e32 v2, vcc, s7, v2
	v_mad_u64_u32 v[10:11], s[10:11], s8, v66, v[10:11]
	s_nop 0
	v_addc_co_u32_e32 v3, vcc, 0, v3, vcc
	v_add_u32_e32 v11, s6, v11
	global_load_dwordx2 v[60:61], v[2:3], off offset:696
	global_load_dwordx2 v[62:63], v[22:23], off offset:488
	s_nop 0
	global_load_dwordx2 v[22:23], v[10:11], off
	global_load_dwordx2 v[64:65], v[2:3], off offset:2640
	v_mad_u64_u32 v[2:3], s[8:9], s8, v66, v[10:11]
	v_add_u32_e32 v3, s6, v3
	global_load_dwordx2 v[2:3], v[2:3], off
	s_waitcnt vmcnt(30)
	v_mul_f32_e32 v10, v1, v7
	v_mul_f32_e32 v7, v0, v7
	v_fmac_f32_e32 v10, v0, v6
	v_fma_f32 v11, v1, v6, -v7
	v_add_u32_e32 v6, 0xf00, v112
	s_waitcnt vmcnt(23)
	v_mul_f32_e32 v0, v19, v9
	v_mul_f32_e32 v1, v18, v9
	v_fmac_f32_e32 v0, v18, v8
	v_fma_f32 v1, v19, v8, -v1
	ds_write2_b64 v112, v[10:11], v[0:1] offset1:243
	s_waitcnt vmcnt(22)
	v_mul_f32_e32 v0, v33, v5
	v_mul_f32_e32 v1, v32, v5
	v_fmac_f32_e32 v0, v32, v4
	v_fma_f32 v1, v33, v4, -v1
	s_waitcnt vmcnt(21)
	v_mul_f32_e32 v4, v35, v25
	v_mul_f32_e32 v5, v34, v25
	v_fmac_f32_e32 v4, v34, v24
	v_fma_f32 v5, v35, v24, -v5
	ds_write2_b64 v6, v[0:1], v[4:5] offset0:6 offset1:249
	s_waitcnt vmcnt(20)
	v_mul_f32_e32 v0, v37, v27
	v_mul_f32_e32 v1, v36, v27
	s_waitcnt vmcnt(19)
	v_mul_f32_e32 v4, v13, v29
	v_mul_f32_e32 v5, v12, v29
	v_fmac_f32_e32 v0, v36, v26
	v_fma_f32 v1, v37, v26, -v1
	v_fmac_f32_e32 v4, v12, v28
	v_fma_f32 v5, v13, v28, -v5
	v_add_u32_e32 v6, 0x1e00, v112
	ds_write2_b64 v6, v[0:1], v[4:5] offset0:12 offset1:255
	s_waitcnt vmcnt(18)
	v_mul_f32_e32 v0, v15, v31
	v_mul_f32_e32 v1, v14, v31
	v_fmac_f32_e32 v0, v14, v30
	v_fma_f32 v1, v15, v30, -v1
	v_add_u32_e32 v6, 0x2d80, v112
	s_waitcnt vmcnt(14)
	v_mul_f32_e32 v4, v17, v45
	v_mul_f32_e32 v5, v16, v45
	v_fmac_f32_e32 v4, v16, v44
	v_fma_f32 v5, v17, v44, -v5
	ds_write2_b64 v6, v[0:1], v[4:5] offset0:2 offset1:245
	s_waitcnt vmcnt(12)
	v_mul_f32_e32 v0, v39, v49
	v_mul_f32_e32 v1, v38, v49
	s_waitcnt vmcnt(11)
	v_mul_f32_e32 v4, v41, v51
	v_mul_f32_e32 v5, v40, v51
	v_fmac_f32_e32 v0, v38, v48
	v_fma_f32 v1, v39, v48, -v1
	v_fmac_f32_e32 v4, v40, v50
	v_fma_f32 v5, v41, v50, -v5
	v_add_u32_e32 v6, 0x3c80, v112
	ds_write2_b64 v6, v[0:1], v[4:5] offset0:8 offset1:251
	s_waitcnt vmcnt(10)
	v_mul_f32_e32 v0, v47, v53
	v_mul_f32_e32 v1, v46, v53
	s_waitcnt vmcnt(7)
	v_mul_f32_e32 v4, v21, v57
	v_mul_f32_e32 v5, v20, v57
	v_fmac_f32_e32 v0, v46, v52
	v_fma_f32 v1, v47, v52, -v1
	v_fmac_f32_e32 v4, v20, v56
	v_fma_f32 v5, v21, v56, -v5
	v_add_u32_e32 v6, 0x4bc0, v112
	;; [unrolled: 12-line block ×3, first 2 shown]
	ds_write2_b64 v6, v[0:1], v[4:5] offset0:4 offset1:247
	s_waitcnt vmcnt(0)
	v_mul_f32_e32 v4, v3, v63
	v_mul_f32_e32 v0, v23, v65
	;; [unrolled: 1-line block ×3, first 2 shown]
	v_fmac_f32_e32 v4, v2, v62
	v_mul_f32_e32 v2, v2, v63
	v_fmac_f32_e32 v0, v22, v64
	v_fma_f32 v1, v23, v64, -v1
	v_fma_f32 v5, v3, v62, -v2
	v_add_u32_e32 v2, 0x6a00, v112
	ds_write2_b64 v2, v[0:1], v[4:5] offset0:10 offset1:253
.LBB0_3:
	s_or_b64 exec, exec, s[16:17]
	s_waitcnt lgkmcnt(0)
	s_barrier
	s_waitcnt lgkmcnt(0)
                                        ; implicit-def: $vgpr8
                                        ; implicit-def: $vgpr16
                                        ; implicit-def: $vgpr12
                                        ; implicit-def: $vgpr24
                                        ; implicit-def: $vgpr0
                                        ; implicit-def: $vgpr20
                                        ; implicit-def: $vgpr4
                                        ; implicit-def: $vgpr28
	s_and_saveexec_b64 s[6:7], s[4:5]
	s_cbranch_execz .LBB0_5
; %bb.4:
	v_add_u32_e32 v0, 0xf00, v112
	v_add_u32_e32 v4, 0x4bc0, v112
	ds_read2_b64 v[0:3], v0 offset0:6 offset1:249
	ds_read2_b64 v[20:23], v4 offset0:6 offset1:249
	ds_read2_b64 v[8:11], v112 offset1:243
	v_add_u32_e32 v4, 0x1e00, v112
	ds_read2_b64 v[12:15], v4 offset0:12 offset1:255
	v_add_u32_e32 v4, 0x3c80, v112
	ds_read2_b64 v[16:19], v4 offset0:8 offset1:251
	;; [unrolled: 2-line block ×3, first 2 shown]
	v_add_u32_e32 v4, 0x2d80, v112
	v_add_u32_e32 v28, 0x6a00, v112
	ds_read2_b64 v[4:7], v4 offset0:2 offset1:245
	ds_read2_b64 v[28:31], v28 offset0:10 offset1:253
.LBB0_5:
	s_or_b64 exec, exec, s[6:7]
	s_waitcnt lgkmcnt(3)
	v_pk_add_f32 v[32:33], v[8:9], v[16:17] neg_lo:[0,1] neg_hi:[0,1]
	s_waitcnt lgkmcnt(2)
	v_pk_add_f32 v[24:25], v[12:13], v[24:25] neg_lo:[0,1] neg_hi:[0,1]
	v_pk_add_f32 v[34:35], v[10:11], v[18:19] neg_lo:[0,1] neg_hi:[0,1]
	;; [unrolled: 1-line block ×3, first 2 shown]
	v_pk_fma_f32 v[16:17], v[8:9], 2.0, v[32:33] op_sel_hi:[1,0,1] neg_lo:[0,0,1] neg_hi:[0,0,1]
	v_pk_fma_f32 v[8:9], v[12:13], 2.0, v[24:25] op_sel_hi:[1,0,1] neg_lo:[0,0,1] neg_hi:[0,0,1]
	v_pk_fma_f32 v[10:11], v[10:11], 2.0, v[34:35] op_sel_hi:[1,0,1] neg_lo:[0,0,1] neg_hi:[0,0,1]
	v_pk_fma_f32 v[12:13], v[14:15], 2.0, v[38:39] op_sel_hi:[1,0,1] neg_lo:[0,0,1] neg_hi:[0,0,1]
	v_pk_add_f32 v[8:9], v[16:17], v[8:9] neg_lo:[0,1] neg_hi:[0,1]
	v_pk_add_f32 v[18:19], v[10:11], v[12:13] neg_lo:[0,1] neg_hi:[0,1]
	s_waitcnt lgkmcnt(0)
	v_pk_add_f32 v[36:37], v[4:5], v[28:29] neg_lo:[0,1] neg_hi:[0,1]
	v_pk_add_f32 v[40:41], v[6:7], v[30:31] neg_lo:[0,1] neg_hi:[0,1]
	v_pk_fma_f32 v[28:29], v[16:17], 2.0, v[8:9] op_sel_hi:[1,0,1] neg_lo:[0,0,1] neg_hi:[0,0,1]
	v_pk_fma_f32 v[30:31], v[10:11], 2.0, v[18:19] op_sel_hi:[1,0,1] neg_lo:[0,0,1] neg_hi:[0,0,1]
	v_pk_add_f32 v[16:17], v[32:33], v[24:25] op_sel:[0,1] op_sel_hi:[1,0] neg_lo:[0,1] neg_hi:[0,1]
	v_pk_add_f32 v[10:11], v[32:33], v[24:25] op_sel:[0,1] op_sel_hi:[1,0]
	v_pk_add_f32 v[24:25], v[34:35], v[38:39] op_sel:[0,1] op_sel_hi:[1,0] neg_lo:[0,1] neg_hi:[0,1]
	v_pk_add_f32 v[14:15], v[34:35], v[38:39] op_sel:[0,1] op_sel_hi:[1,0]
	v_pk_add_f32 v[20:21], v[0:1], v[20:21] neg_lo:[0,1] neg_hi:[0,1]
	v_pk_add_f32 v[22:23], v[2:3], v[22:23] neg_lo:[0,1] neg_hi:[0,1]
	v_mov_b32_e32 v17, v11
	v_mov_b32_e32 v25, v15
	v_pk_fma_f32 v[26:27], v[32:33], 2.0, v[16:17] op_sel_hi:[1,0,1] neg_lo:[0,0,1] neg_hi:[0,0,1]
	v_pk_add_f32 v[12:13], v[20:21], v[36:37] op_sel:[0,1] op_sel_hi:[1,0] neg_lo:[0,1] neg_hi:[0,1]
	v_pk_add_f32 v[10:11], v[20:21], v[36:37] op_sel:[0,1] op_sel_hi:[1,0]
	v_pk_fma_f32 v[32:33], v[34:35], 2.0, v[24:25] op_sel_hi:[1,0,1] neg_lo:[0,0,1] neg_hi:[0,0,1]
	v_pk_add_f32 v[14:15], v[22:23], v[40:41] op_sel:[0,1] op_sel_hi:[1,0] neg_lo:[0,1] neg_hi:[0,1]
	v_pk_add_f32 v[34:35], v[22:23], v[40:41] op_sel:[0,1] op_sel_hi:[1,0]
	v_pk_fma_f32 v[0:1], v[0:1], 2.0, v[20:21] op_sel_hi:[1,0,1] neg_lo:[0,0,1] neg_hi:[0,0,1]
	v_pk_fma_f32 v[4:5], v[4:5], 2.0, v[36:37] op_sel_hi:[1,0,1] neg_lo:[0,0,1] neg_hi:[0,0,1]
	;; [unrolled: 1-line block ×4, first 2 shown]
	v_mov_b32_e32 v13, v11
	v_mov_b32_e32 v15, v35
	v_pk_add_f32 v[4:5], v[0:1], v[4:5] neg_lo:[0,1] neg_hi:[0,1]
	v_pk_add_f32 v[36:37], v[2:3], v[6:7] neg_lo:[0,1] neg_hi:[0,1]
	s_load_dwordx2 s[8:9], s[0:1], 0x20
	s_load_dwordx2 s[6:7], s[0:1], 0x8
	v_pk_fma_f32 v[10:11], v[20:21], 2.0, v[12:13] op_sel_hi:[1,0,1] neg_lo:[0,0,1] neg_hi:[0,0,1]
	v_pk_fma_f32 v[34:35], v[22:23], 2.0, v[14:15] op_sel_hi:[1,0,1] neg_lo:[0,0,1] neg_hi:[0,0,1]
	s_mov_b32 s0, 0x3f3504f3
	v_fma_f32 v20, v0, 2.0, -v4
	v_fma_f32 v23, v1, 2.0, -v5
	;; [unrolled: 1-line block ×4, first 2 shown]
	v_pk_add_f32 v[0:1], v[8:9], v[4:5] op_sel:[0,1] op_sel_hi:[1,0] neg_lo:[0,1] neg_hi:[0,1]
	v_pk_add_f32 v[2:3], v[8:9], v[4:5] op_sel:[0,1] op_sel_hi:[1,0]
	v_pk_add_f32 v[6:7], v[18:19], v[36:37] op_sel:[0,1] op_sel_hi:[1,0] neg_lo:[0,1] neg_hi:[0,1]
	v_mov_b32_e32 v1, v3
	v_pk_add_f32 v[2:3], v[18:19], v[36:37] op_sel:[0,1] op_sel_hi:[1,0]
	v_pk_mul_f32 v[4:5], v[12:13], s[0:1] op_sel_hi:[1,0]
	v_pk_fma_f32 v[12:13], v[12:13], s[0:1], v[16:17] op_sel_hi:[1,0,1]
	v_pk_mul_f32 v[38:39], v[10:11], s[0:1] op_sel_hi:[1,0]
	v_pk_fma_f32 v[42:43], v[10:11], s[0:1], v[26:27] op_sel_hi:[1,0,1] neg_lo:[1,0,0] neg_hi:[1,0,0]
	v_mov_b32_e32 v7, v3
	v_pk_add_f32 v[2:3], v[12:13], v[4:5] op_sel:[0,1] op_sel_hi:[1,0] neg_lo:[0,1] neg_hi:[0,1]
	v_pk_add_f32 v[4:5], v[12:13], v[4:5] op_sel:[0,1] op_sel_hi:[1,0]
	v_pk_mul_f32 v[12:13], v[14:15], s[0:1] op_sel_hi:[1,0]
	v_pk_fma_f32 v[14:15], v[14:15], s[0:1], v[24:25] op_sel_hi:[1,0,1]
	v_pk_add_f32 v[10:11], v[42:43], v[38:39] op_sel:[0,1] op_sel_hi:[1,0] neg_lo:[0,1] neg_hi:[0,1]
	v_pk_add_f32 v[38:39], v[42:43], v[38:39] op_sel:[0,1] op_sel_hi:[1,0]
	v_mov_b32_e32 v3, v5
	v_pk_add_f32 v[4:5], v[14:15], v[12:13] op_sel:[0,1] op_sel_hi:[1,0] neg_lo:[0,1] neg_hi:[0,1]
	v_pk_add_f32 v[12:13], v[14:15], v[12:13] op_sel:[0,1] op_sel_hi:[1,0]
	v_mov_b32_e32 v11, v39
	v_pk_mul_f32 v[38:39], v[34:35], s[0:1] op_sel_hi:[1,0]
	v_pk_fma_f32 v[42:43], v[34:35], s[0:1], v[32:33] op_sel_hi:[1,0,1] neg_lo:[1,0,0] neg_hi:[1,0,0]
	v_mov_b32_e32 v5, v13
	v_mov_b32_e32 v12, v28
	;; [unrolled: 1-line block ×3, first 2 shown]
	v_pk_add_f32 v[34:35], v[42:43], v[38:39] op_sel:[0,1] op_sel_hi:[1,0] neg_lo:[0,1] neg_hi:[0,1]
	v_pk_add_f32 v[38:39], v[42:43], v[38:39] op_sel:[0,1] op_sel_hi:[1,0]
	v_pk_add_f32 v[36:37], v[12:13], v[20:21] neg_lo:[0,1] neg_hi:[0,1]
	v_mov_b32_e32 v12, v31
	v_mov_b32_e32 v13, v29
	;; [unrolled: 1-line block ×3, first 2 shown]
	s_mov_b32 s10, 0x3ec3ef15
	s_mov_b32 s16, 0x3f6c835e
	v_pk_add_f32 v[38:39], v[12:13], v[22:23] neg_lo:[0,1] neg_hi:[0,1]
	v_pk_fma_f32 v[20:21], v[34:35], s[10:11], v[10:11] op_sel_hi:[1,0,1]
	v_pk_add_f32 v[12:13], v[36:37], v[38:39] neg_lo:[0,1] neg_hi:[0,1]
	v_pk_add_f32 v[14:15], v[36:37], v[38:39]
	v_pk_mul_f32 v[22:23], v[34:35], s[16:17] op_sel_hi:[1,0]
	v_mov_b32_e32 v13, v15
	v_pk_add_f32 v[14:15], v[20:21], v[22:23] op_sel:[0,1] op_sel_hi:[1,0] neg_lo:[0,1] neg_hi:[0,1]
	v_pk_add_f32 v[20:21], v[20:21], v[22:23] op_sel:[0,1] op_sel_hi:[1,0]
	v_pk_mul_f32 v[22:23], v[6:7], s[0:1] op_sel_hi:[1,0]
	v_pk_fma_f32 v[40:41], v[6:7], s[0:1], v[0:1] op_sel_hi:[1,0,1]
	v_mov_b32_e32 v15, v21
	v_pk_add_f32 v[20:21], v[40:41], v[22:23] op_sel:[0,1] op_sel_hi:[1,0] neg_lo:[0,1] neg_hi:[0,1]
	v_pk_add_f32 v[22:23], v[40:41], v[22:23] op_sel:[0,1] op_sel_hi:[1,0]
	v_pk_fma_f32 v[40:41], v[4:5], s[16:17], v[2:3] op_sel_hi:[1,0,1]
	v_pk_mul_f32 v[42:43], v[4:5], s[10:11] op_sel_hi:[1,0]
	v_mov_b32_e32 v21, v23
	v_pk_add_f32 v[22:23], v[40:41], v[42:43] op_sel:[0,1] op_sel_hi:[1,0] neg_lo:[0,1] neg_hi:[0,1]
	v_pk_add_f32 v[40:41], v[40:41], v[42:43] op_sel:[0,1] op_sel_hi:[1,0]
	v_lshlrev_b32_e32 v118, 4, v114
	v_mov_b32_e32 v23, v41
	s_waitcnt lgkmcnt(0)
	s_barrier
	s_and_saveexec_b64 s[0:1], s[2:3]
	s_xor_b64 s[0:1], exec, s[0:1]
; %bb.6:
	v_mov_b32_e32 v119, 0
                                        ; implicit-def: $vgpr8_vgpr9
                                        ; implicit-def: $vgpr28_vgpr29
                                        ; implicit-def: $vgpr18_vgpr19
                                        ; implicit-def: $vgpr30_vgpr31
                                        ; implicit-def: $vgpr26_vgpr27
                                        ; implicit-def: $vgpr32_vgpr33
                                        ; implicit-def: $vgpr36_vgpr37
                                        ; implicit-def: $vgpr38_vgpr39
                                        ; implicit-def: $vgpr4_vgpr5
                                        ; implicit-def: $vgpr2_vgpr3
                                        ; implicit-def: $vgpr6_vgpr7
                                        ; implicit-def: $vgpr0_vgpr1
                                        ; implicit-def: $vgpr34_vgpr35
                                        ; implicit-def: $vgpr10_vgpr11
                                        ; implicit-def: $vgpr24_vgpr25
                                        ; implicit-def: $vgpr16_vgpr17
; %bb.7:
	s_andn2_saveexec_b64 s[0:1], s[0:1]
	s_cbranch_execz .LBB0_9
; %bb.8:
	v_mov_b32_e32 v40, v36
	v_mov_b32_e32 v41, v39
	v_pk_fma_f32 v[42:43], v[28:29], 2.0, v[40:41] op_sel_hi:[1,0,1] neg_lo:[0,0,1] neg_hi:[0,0,1]
	v_mov_b32_e32 v28, v37
	v_mov_b32_e32 v29, v38
	v_pk_fma_f32 v[28:29], v[30:31], 2.0, v[28:29] op_sel_hi:[1,0,1] neg_lo:[0,0,1] neg_hi:[0,0,1]
	v_pk_fma_f32 v[30:31], v[32:33], 2.0, v[34:35] op_sel_hi:[1,0,1] neg_lo:[0,0,1] neg_hi:[0,0,1]
	;; [unrolled: 1-line block ×3, first 2 shown]
	s_mov_b32 s2, 0x3f6c835e
	v_pk_add_f32 v[28:29], v[42:43], v[28:29] neg_lo:[0,1] neg_hi:[0,1]
	v_pk_fma_f32 v[32:33], v[30:31], s[2:3], v[26:27] op_sel_hi:[1,0,1] neg_lo:[1,0,0] neg_hi:[1,0,0]
	v_pk_mul_f32 v[34:35], v[30:31], s[10:11] op_sel_hi:[1,0]
	v_pk_fma_f32 v[36:37], v[42:43], 2.0, v[28:29] op_sel_hi:[1,0,1] neg_lo:[0,0,1] neg_hi:[0,0,1]
	v_pk_add_f32 v[30:31], v[32:33], v[34:35] op_sel:[0,1] op_sel_hi:[1,0] neg_lo:[0,1] neg_hi:[0,1]
	v_pk_add_f32 v[42:43], v[32:33], v[34:35] op_sel:[0,1] op_sel_hi:[1,0]
	v_pk_fma_f32 v[6:7], v[18:19], 2.0, v[6:7] op_sel_hi:[1,0,1] neg_lo:[0,0,1] neg_hi:[0,0,1]
	v_mov_b32_e32 v31, v43
	s_mov_b32 s16, 0x3f3504f3
	v_pk_fma_f32 v[8:9], v[8:9], 2.0, v[0:1] op_sel_hi:[1,0,1] neg_lo:[0,0,1] neg_hi:[0,0,1]
	v_pk_fma_f32 v[38:39], v[26:27], 2.0, v[30:31] op_sel_hi:[1,0,1] neg_lo:[0,0,1] neg_hi:[0,0,1]
	v_pk_mul_f32 v[18:19], v[6:7], s[16:17] op_sel_hi:[1,0]
	v_pk_fma_f32 v[26:27], v[6:7], s[16:17], v[8:9] op_sel_hi:[1,0,1] neg_lo:[1,0,0] neg_hi:[1,0,0]
	v_pk_fma_f32 v[4:5], v[24:25], 2.0, v[4:5] op_sel_hi:[1,0,1] neg_lo:[0,0,1] neg_hi:[0,0,1]
	v_pk_add_f32 v[6:7], v[26:27], v[18:19] op_sel:[0,1] op_sel_hi:[1,0] neg_lo:[0,1] neg_hi:[0,1]
	v_pk_add_f32 v[26:27], v[26:27], v[18:19] op_sel:[0,1] op_sel_hi:[1,0]
	v_pk_fma_f32 v[16:17], v[16:17], 2.0, v[2:3] op_sel_hi:[1,0,1] neg_lo:[0,0,1] neg_hi:[0,0,1]
	v_mov_b32_e32 v7, v27
	v_pk_fma_f32 v[18:19], v[4:5], s[10:11], v[16:17] op_sel_hi:[1,0,1] neg_lo:[1,0,0] neg_hi:[1,0,0]
	v_pk_mul_f32 v[4:5], v[4:5], s[2:3] op_sel_hi:[1,0]
	v_pk_fma_f32 v[32:33], v[8:9], 2.0, v[6:7] op_sel_hi:[1,0,1] neg_lo:[0,0,1] neg_hi:[0,0,1]
	v_pk_add_f32 v[8:9], v[18:19], v[4:5] op_sel:[0,1] op_sel_hi:[1,0] neg_lo:[0,1] neg_hi:[0,1]
	v_pk_add_f32 v[4:5], v[18:19], v[4:5] op_sel:[0,1] op_sel_hi:[1,0]
	v_mov_b32_e32 v119, 0
	v_mov_b32_e32 v9, v5
	v_lshlrev_b32_e32 v44, 7, v114
	v_pk_fma_f32 v[34:35], v[16:17], 2.0, v[8:9] op_sel_hi:[1,0,1] neg_lo:[0,0,1] neg_hi:[0,0,1]
	v_pk_fma_f32 v[16:17], v[40:41], 2.0, v[12:13] op_sel_hi:[1,0,1] neg_lo:[0,0,1] neg_hi:[0,0,1]
	;; [unrolled: 1-line block ×5, first 2 shown]
	ds_write_b128 v44, v[36:39]
	ds_write_b128 v44, v[32:35] offset:16
	ds_write_b128 v44, v[16:19] offset:32
	;; [unrolled: 1-line block ×7, first 2 shown]
.LBB0_9:
	s_or_b64 exec, exec, s[0:1]
	s_load_dwordx4 s[0:3], s[8:9], 0x0
	s_mov_b64 s[8:9], 0x144
	v_lshl_add_u64 v[72:73], v[114:115], 0, s[8:9]
	s_mov_b64 s[8:9], 0x288
	v_and_b32_e32 v24, 15, v114
	v_lshl_add_u64 v[82:83], v[114:115], 0, s[8:9]
	s_mov_b64 s[8:9], 0x3cc
	v_lshlrev_b32_e32 v0, 4, v24
	s_waitcnt lgkmcnt(0)
	s_barrier
	v_lshl_add_u64 v[80:81], v[114:115], 0, s[8:9]
	global_load_dwordx4 v[0:3], v0, s[6:7]
	v_and_b32_e32 v48, 15, v82
	v_lshlrev_b32_e32 v4, 4, v48
	v_and_b32_e32 v49, 15, v80
	v_and_b32_e32 v50, 15, v72
	v_lshlrev_b32_e32 v5, 4, v49
	global_load_dwordx4 v[8:11], v4, s[6:7]
	global_load_dwordx4 v[16:19], v5, s[6:7]
	v_lshlrev_b32_e32 v4, 4, v50
	global_load_dwordx4 v[4:7], v4, s[6:7]
	v_mov_b32_e32 v25, 3
	v_lshrrev_b32_e32 v26, 4, v114
	v_lshlrev_b32_sdwa v117, v25, v114 dst_sel:DWORD dst_unused:UNUSED_PAD src0_sel:DWORD src1_sel:WORD_0
	v_mul_u32_u24_e32 v25, 48, v26
	v_or_b32_e32 v51, v25, v24
	v_lshrrev_b32_e32 v52, 4, v72
	v_lshrrev_b32_e32 v53, 4, v82
	;; [unrolled: 1-line block ×3, first 2 shown]
	v_mul_u32_u24_e32 v52, 48, v52
	v_mul_u32_u24_e32 v53, 48, v53
	v_lshlrev_b32_e32 v187, 3, v51
	v_mul_u32_u24_e32 v51, 48, v54
	v_or_b32_e32 v50, v52, v50
	v_or_b32_e32 v48, v53, v48
	;; [unrolled: 1-line block ×3, first 2 shown]
	ds_read_b64 v[24:25], v117 offset:18144
	ds_read_b64 v[26:27], v117 offset:15552
	;; [unrolled: 1-line block ×11, first 2 shown]
	ds_read_b64 v[46:47], v117
	v_lshlrev_b32_e32 v186, 3, v50
	v_lshlrev_b32_e32 v185, 3, v48
	;; [unrolled: 1-line block ×3, first 2 shown]
	s_mov_b32 s8, 0x3f5db3d7
	s_waitcnt lgkmcnt(0)
	s_barrier
	v_mov_b32_e32 v121, 0
	s_movk_i32 s10, 0xff94
	s_mov_b32 s11, -1
	s_waitcnt vmcnt(3)
	v_pk_mul_f32 v[48:49], v[30:31], v[0:1] op_sel:[0,1]
	v_mov_b32_e32 v50, v3
	v_pk_fma_f32 v[52:53], v[30:31], v[0:1], v[48:49] op_sel:[0,0,1] op_sel_hi:[1,1,0] neg_lo:[0,0,1] neg_hi:[0,0,1]
	v_pk_fma_f32 v[30:31], v[30:31], v[0:1], v[48:49] op_sel:[0,0,1] op_sel_hi:[1,0,0]
	v_pk_mul_f32 v[48:49], v[38:39], v[50:51] op_sel_hi:[1,0]
	s_waitcnt vmcnt(2)
	v_pk_mul_f32 v[54:55], v[26:27], v[8:9] op_sel:[0,1]
	v_pk_fma_f32 v[58:59], v[38:39], v[2:3], v[48:49] op_sel:[0,0,1] op_sel_hi:[1,1,0] neg_lo:[0,0,1] neg_hi:[0,0,1]
	v_pk_fma_f32 v[38:39], v[38:39], v[2:3], v[48:49] op_sel:[0,0,1] op_sel_hi:[1,0,0]
	s_waitcnt vmcnt(1)
	v_pk_mul_f32 v[50:51], v[24:25], v[16:17] op_sel:[0,1]
	v_mov_b32_e32 v30, v19
	s_waitcnt vmcnt(0)
	v_pk_mul_f32 v[56:57], v[28:29], v[4:5] op_sel:[0,1]
	v_mov_b32_e32 v38, v11
	v_mov_b32_e32 v53, v31
	v_pk_fma_f32 v[48:49], v[24:25], v[16:17], v[50:51] op_sel:[0,0,1] op_sel_hi:[1,1,0] neg_lo:[0,0,1] neg_hi:[0,0,1]
	v_pk_fma_f32 v[24:25], v[24:25], v[16:17], v[50:51] op_sel:[0,0,1] op_sel_hi:[1,0,0]
	v_pk_fma_f32 v[50:51], v[26:27], v[8:9], v[54:55] op_sel:[0,0,1] op_sel_hi:[1,1,0] neg_lo:[0,0,1] neg_hi:[0,0,1]
	v_pk_fma_f32 v[26:27], v[26:27], v[8:9], v[54:55] op_sel:[0,0,1] op_sel_hi:[1,0,0]
	;; [unrolled: 2-line block ×3, first 2 shown]
	v_pk_mul_f32 v[30:31], v[32:33], v[30:31] op_sel_hi:[1,0]
	v_pk_mul_f32 v[56:57], v[34:35], v[38:39] op_sel_hi:[1,0]
	v_mov_b32_e32 v59, v39
	v_mov_b32_e32 v49, v25
	v_pk_fma_f32 v[24:25], v[32:33], v[18:19], v[30:31] op_sel:[0,0,1] op_sel_hi:[1,1,0] neg_lo:[0,0,1] neg_hi:[0,0,1]
	v_pk_fma_f32 v[30:31], v[32:33], v[18:19], v[30:31] op_sel:[0,0,1] op_sel_hi:[1,0,0]
	v_mov_b32_e32 v51, v27
	v_pk_fma_f32 v[26:27], v[34:35], v[10:11], v[56:57] op_sel:[0,0,1] op_sel_hi:[1,1,0] neg_lo:[0,0,1] neg_hi:[0,0,1]
	v_pk_fma_f32 v[32:33], v[34:35], v[10:11], v[56:57] op_sel:[0,0,1] op_sel_hi:[1,0,0]
	v_mov_b32_e32 v55, v29
	v_pk_add_f32 v[28:29], v[52:53], v[58:59]
	v_pk_add_f32 v[34:35], v[52:53], v[58:59] neg_lo:[0,1] neg_hi:[0,1]
	v_pk_fma_f32 v[28:29], v[28:29], 0.5, v[46:47] op_sel_hi:[1,0,1] neg_lo:[1,0,0] neg_hi:[1,0,0]
	v_pk_mul_f32 v[34:35], v[34:35], s[8:9] op_sel_hi:[1,0]
	v_mov_b32_e32 v27, v33
	v_pk_add_f32 v[32:33], v[46:47], v[52:53]
	v_pk_add_f32 v[38:39], v[28:29], v[34:35] op_sel:[0,1] op_sel_hi:[1,0]
	v_pk_add_f32 v[28:29], v[28:29], v[34:35] op_sel:[0,1] op_sel_hi:[1,0] neg_lo:[0,1] neg_hi:[0,1]
	v_pk_add_f32 v[32:33], v[32:33], v[58:59]
	v_mov_b32_e32 v34, v38
	v_mov_b32_e32 v35, v29
	ds_write2_b64 v187, v[32:33], v[34:35] offset1:16
	v_mov_b32_e32 v32, v7
	v_pk_mul_f32 v[32:33], v[36:37], v[32:33] op_sel_hi:[1,0]
	v_mov_b32_e32 v29, v39
	v_pk_fma_f32 v[34:35], v[36:37], v[6:7], v[32:33] op_sel:[0,0,1] op_sel_hi:[1,1,0] neg_lo:[0,0,1] neg_hi:[0,0,1]
	v_pk_fma_f32 v[32:33], v[36:37], v[6:7], v[32:33] op_sel:[0,0,1] op_sel_hi:[1,0,0]
	ds_write_b64 v187, v[28:29] offset:256
	v_mov_b32_e32 v35, v33
	v_pk_add_f32 v[32:33], v[44:45], v[54:55]
	v_pk_add_f32 v[28:29], v[54:55], v[34:35]
	;; [unrolled: 1-line block ×3, first 2 shown]
	v_pk_add_f32 v[34:35], v[54:55], v[34:35] neg_lo:[0,1] neg_hi:[0,1]
	v_pk_fma_f32 v[28:29], v[28:29], 0.5, v[44:45] op_sel_hi:[1,0,1] neg_lo:[1,0,0] neg_hi:[1,0,0]
	v_pk_mul_f32 v[34:35], v[34:35], s[8:9] op_sel_hi:[1,0]
	v_pk_add_f32 v[36:37], v[42:43], v[50:51]
	v_pk_add_f32 v[38:39], v[28:29], v[34:35] op_sel:[0,1] op_sel_hi:[1,0]
	v_pk_add_f32 v[28:29], v[28:29], v[34:35] op_sel:[0,1] op_sel_hi:[1,0] neg_lo:[0,1] neg_hi:[0,1]
	v_pk_add_f32 v[36:37], v[36:37], v[26:27]
	v_mov_b32_e32 v35, v29
	v_mov_b32_e32 v29, v39
	ds_write_b64 v186, v[28:29] offset:256
	v_pk_add_f32 v[28:29], v[50:51], v[26:27]
	v_pk_add_f32 v[26:27], v[50:51], v[26:27] neg_lo:[0,1] neg_hi:[0,1]
	v_mov_b32_e32 v34, v38
	v_pk_fma_f32 v[28:29], v[28:29], 0.5, v[42:43] op_sel_hi:[1,0,1] neg_lo:[1,0,0] neg_hi:[1,0,0]
	v_pk_mul_f32 v[26:27], v[26:27], s[8:9] op_sel_hi:[1,0]
	ds_write2_b64 v186, v[32:33], v[34:35] offset1:16
	v_pk_add_f32 v[32:33], v[28:29], v[26:27] op_sel:[0,1] op_sel_hi:[1,0]
	v_pk_add_f32 v[26:27], v[28:29], v[26:27] op_sel:[0,1] op_sel_hi:[1,0] neg_lo:[0,1] neg_hi:[0,1]
	v_mov_b32_e32 v25, v31
	v_pk_add_f32 v[30:31], v[40:41], v[48:49]
	v_mov_b32_e32 v29, v27
	v_mov_b32_e32 v27, v33
	v_pk_add_f32 v[30:31], v[30:31], v[24:25]
	ds_write_b64 v185, v[26:27] offset:256
	v_pk_add_f32 v[26:27], v[48:49], v[24:25]
	v_pk_add_f32 v[24:25], v[48:49], v[24:25] neg_lo:[0,1] neg_hi:[0,1]
	v_mov_b32_e32 v28, v32
	v_pk_fma_f32 v[26:27], v[26:27], 0.5, v[40:41] op_sel_hi:[1,0,1] neg_lo:[1,0,0] neg_hi:[1,0,0]
	v_pk_mul_f32 v[24:25], v[24:25], s[8:9] op_sel_hi:[1,0]
	ds_write2_b64 v185, v[36:37], v[28:29] offset1:16
	v_pk_add_f32 v[28:29], v[26:27], v[24:25] op_sel:[0,1] op_sel_hi:[1,0]
	v_pk_add_f32 v[24:25], v[26:27], v[24:25] op_sel:[0,1] op_sel_hi:[1,0] neg_lo:[0,1] neg_hi:[0,1]
	s_mov_b32 s9, 0xaaab
	v_mov_b32_e32 v27, v25
	v_mov_b32_e32 v25, v29
	ds_write_b64 v184, v[24:25] offset:256
	v_mul_u32_u24_sdwa v24, v114, s9 dst_sel:DWORD dst_unused:UNUSED_PAD src0_sel:WORD_0 src1_sel:DWORD
	v_lshrrev_b32_e32 v70, 21, v24
	v_mul_lo_u16_e32 v24, 48, v70
	v_sub_u16_e32 v71, v114, v24
	v_lshlrev_b16_e32 v120, 4, v71
	v_mov_b32_e32 v26, v28
	v_lshl_add_u64 v[24:25], s[6:7], 0, v[120:121]
	ds_write2_b64 v184, v[30:31], v[26:27] offset1:16
	s_waitcnt lgkmcnt(0)
	s_barrier
	global_load_dwordx4 v[24:27], v[24:25], off offset:256
	v_mul_u32_u24_sdwa v28, v72, s9 dst_sel:DWORD dst_unused:UNUSED_PAD src0_sel:WORD_0 src1_sel:DWORD
	v_lshrrev_b32_e32 v74, 21, v28
	v_mul_lo_u16_e32 v28, 48, v74
	v_sub_u16_e32 v75, v72, v28
	v_lshlrev_b16_e32 v120, 4, v75
	v_lshl_add_u64 v[28:29], s[6:7], 0, v[120:121]
	global_load_dwordx4 v[28:31], v[28:29], off offset:256
	v_mul_u32_u24_sdwa v32, v82, s9 dst_sel:DWORD dst_unused:UNUSED_PAD src0_sel:WORD_0 src1_sel:DWORD
	v_lshrrev_b32_e32 v76, 21, v32
	v_mul_lo_u16_e32 v32, 48, v76
	v_sub_u16_e32 v77, v82, v32
	v_lshlrev_b16_e32 v120, 4, v77
	v_lshl_add_u64 v[32:33], s[6:7], 0, v[120:121]
	;; [unrolled: 7-line block ×3, first 2 shown]
	ds_read_b64 v[32:33], v117 offset:10368
	ds_read_b64 v[34:35], v117
	ds_read_b64 v[44:45], v117 offset:20736
	ds_read_b64 v[46:47], v117 offset:18144
	;; [unrolled: 1-line block ×4, first 2 shown]
	global_load_dwordx4 v[40:43], v[40:41], off offset:256
	s_waitcnt vmcnt(3) lgkmcnt(5)
	v_pk_mul_f32 v[52:53], v[32:33], v[24:25] op_sel:[0,1]
	s_nop 0
	v_pk_fma_f32 v[54:55], v[32:33], v[24:25], v[52:53] op_sel:[0,0,1] op_sel_hi:[1,1,0] neg_lo:[0,0,1] neg_hi:[0,0,1]
	v_pk_fma_f32 v[32:33], v[32:33], v[24:25], v[52:53] op_sel:[0,0,1] op_sel_hi:[1,0,0]
	ds_read_b64 v[52:53], v117 offset:28512
	ds_read_b64 v[56:57], v117 offset:25920
	;; [unrolled: 1-line block ×3, first 2 shown]
	v_mov_b32_e32 v32, v27
	v_mov_b32_e32 v55, v33
	s_waitcnt lgkmcnt(6)
	v_pk_mul_f32 v[32:33], v[44:45], v[32:33] op_sel_hi:[1,0]
	s_nop 0
	v_pk_fma_f32 v[60:61], v[44:45], v[26:27], v[32:33] op_sel:[0,0,1] op_sel_hi:[1,1,0] neg_lo:[0,0,1] neg_hi:[0,0,1]
	v_pk_fma_f32 v[32:33], v[44:45], v[26:27], v[32:33] op_sel:[0,0,1] op_sel_hi:[1,0,0]
	ds_read_b64 v[44:45], v117 offset:7776
	ds_read_b64 v[62:63], v117 offset:5184
	;; [unrolled: 1-line block ×3, first 2 shown]
	v_mov_b32_e32 v61, v33
	v_pk_add_f32 v[32:33], v[54:55], v[60:61]
	v_pk_add_f32 v[66:67], v[54:55], v[60:61] neg_lo:[0,1] neg_hi:[0,1]
	v_pk_fma_f32 v[32:33], v[32:33], 0.5, v[34:35] op_sel_hi:[1,0,1] neg_lo:[1,0,0] neg_hi:[1,0,0]
	v_pk_mul_f32 v[66:67], v[66:67], s[8:9] op_sel_hi:[1,0]
	s_movk_i32 s9, 0x90
	v_pk_add_f32 v[68:69], v[32:33], v[66:67] op_sel:[0,1] op_sel_hi:[1,0] neg_lo:[0,1] neg_hi:[0,1]
	v_pk_add_f32 v[32:33], v[32:33], v[66:67] op_sel:[0,1] op_sel_hi:[1,0]
	v_pk_add_f32 v[34:35], v[34:35], v[54:55]
	v_mad_legacy_u16 v54, v70, s9, v71
	v_pk_add_f32 v[34:35], v[34:35], v[60:61]
	v_lshlrev_b32_e32 v188, 3, v54
	v_mov_b32_e32 v54, v32
	v_mov_b32_e32 v55, v69
	s_waitcnt lgkmcnt(0)
	s_barrier
	ds_write2_b64 v188, v[34:35], v[54:55] offset1:48
	s_waitcnt vmcnt(2)
	v_pk_mul_f32 v[34:35], v[50:51], v[28:29] op_sel:[0,1]
	v_mov_b32_e32 v32, v31
	v_pk_fma_f32 v[54:55], v[50:51], v[28:29], v[34:35] op_sel:[0,0,1] op_sel_hi:[1,1,0] neg_lo:[0,0,1] neg_hi:[0,0,1]
	v_pk_fma_f32 v[34:35], v[50:51], v[28:29], v[34:35] op_sel:[0,0,1] op_sel_hi:[1,0,0]
	v_mov_b32_e32 v69, v33
	v_mov_b32_e32 v55, v35
	v_pk_mul_f32 v[34:35], v[58:59], v[32:33] op_sel_hi:[1,0]
	v_pk_add_f32 v[32:33], v[64:65], v[54:55]
	v_pk_fma_f32 v[50:51], v[58:59], v[30:31], v[34:35] op_sel:[0,0,1] op_sel_hi:[1,1,0] neg_lo:[0,0,1] neg_hi:[0,0,1]
	v_pk_fma_f32 v[34:35], v[58:59], v[30:31], v[34:35] op_sel:[0,0,1] op_sel_hi:[1,0,0]
	ds_write_b64 v188, v[68:69] offset:768
	v_mov_b32_e32 v51, v35
	v_pk_add_f32 v[34:35], v[54:55], v[50:51]
	v_pk_add_f32 v[58:59], v[54:55], v[50:51] neg_lo:[0,1] neg_hi:[0,1]
	v_pk_fma_f32 v[34:35], v[34:35], 0.5, v[64:65] op_sel_hi:[1,0,1] neg_lo:[1,0,0] neg_hi:[1,0,0]
	v_pk_mul_f32 v[58:59], v[58:59], s[8:9] op_sel_hi:[1,0]
	v_pk_add_f32 v[32:33], v[32:33], v[50:51]
	v_pk_add_f32 v[60:61], v[34:35], v[58:59] op_sel:[0,1] op_sel_hi:[1,0] neg_lo:[0,1] neg_hi:[0,1]
	v_pk_add_f32 v[34:35], v[34:35], v[58:59] op_sel:[0,1] op_sel_hi:[1,0]
	v_mad_legacy_u16 v50, v74, s9, v75
	v_lshlrev_b32_e32 v189, 3, v50
	v_mov_b32_e32 v50, v34
	v_mov_b32_e32 v51, v61
	ds_write2_b64 v189, v[32:33], v[50:51] offset1:48
	s_waitcnt vmcnt(1)
	v_pk_mul_f32 v[32:33], v[48:49], v[36:37] op_sel:[0,1]
	v_mov_b32_e32 v61, v35
	v_pk_fma_f32 v[50:51], v[48:49], v[36:37], v[32:33] op_sel:[0,0,1] op_sel_hi:[1,1,0] neg_lo:[0,0,1] neg_hi:[0,0,1]
	v_pk_fma_f32 v[32:33], v[48:49], v[36:37], v[32:33] op_sel:[0,0,1] op_sel_hi:[1,0,0]
	ds_write_b64 v189, v[60:61] offset:768
	v_mov_b32_e32 v32, v39
	v_mov_b32_e32 v51, v33
	v_pk_mul_f32 v[32:33], v[56:57], v[32:33] op_sel_hi:[1,0]
	v_pk_add_f32 v[34:35], v[62:63], v[50:51]
	v_pk_fma_f32 v[48:49], v[56:57], v[38:39], v[32:33] op_sel:[0,0,1] op_sel_hi:[1,1,0] neg_lo:[0,0,1] neg_hi:[0,0,1]
	v_pk_fma_f32 v[32:33], v[56:57], v[38:39], v[32:33] op_sel:[0,0,1] op_sel_hi:[1,0,0]
	s_nop 0
	v_mov_b32_e32 v49, v33
	v_pk_add_f32 v[32:33], v[50:51], v[48:49]
	v_pk_add_f32 v[54:55], v[50:51], v[48:49] neg_lo:[0,1] neg_hi:[0,1]
	v_pk_fma_f32 v[32:33], v[32:33], 0.5, v[62:63] op_sel_hi:[1,0,1] neg_lo:[1,0,0] neg_hi:[1,0,0]
	v_pk_mul_f32 v[54:55], v[54:55], s[8:9] op_sel_hi:[1,0]
	v_pk_add_f32 v[34:35], v[34:35], v[48:49]
	v_pk_add_f32 v[56:57], v[32:33], v[54:55] op_sel:[0,1] op_sel_hi:[1,0] neg_lo:[0,1] neg_hi:[0,1]
	v_pk_add_f32 v[32:33], v[32:33], v[54:55] op_sel:[0,1] op_sel_hi:[1,0]
	v_mad_legacy_u16 v48, v76, s9, v77
	v_lshlrev_b32_e32 v190, 3, v48
	v_mov_b32_e32 v48, v32
	v_mov_b32_e32 v49, v57
	ds_write2_b64 v190, v[34:35], v[48:49] offset1:48
	s_waitcnt vmcnt(0)
	v_pk_mul_f32 v[34:35], v[46:47], v[40:41] op_sel:[0,1]
	v_mov_b32_e32 v32, v43
	v_pk_fma_f32 v[48:49], v[46:47], v[40:41], v[34:35] op_sel:[0,0,1] op_sel_hi:[1,1,0] neg_lo:[0,0,1] neg_hi:[0,0,1]
	v_pk_fma_f32 v[34:35], v[46:47], v[40:41], v[34:35] op_sel:[0,0,1] op_sel_hi:[1,0,0]
	v_mov_b32_e32 v57, v33
	v_mov_b32_e32 v49, v35
	v_pk_mul_f32 v[34:35], v[52:53], v[32:33] op_sel_hi:[1,0]
	v_pk_add_f32 v[32:33], v[44:45], v[48:49]
	v_pk_fma_f32 v[46:47], v[52:53], v[42:43], v[34:35] op_sel:[0,0,1] op_sel_hi:[1,1,0] neg_lo:[0,0,1] neg_hi:[0,0,1]
	v_pk_fma_f32 v[34:35], v[52:53], v[42:43], v[34:35] op_sel:[0,0,1] op_sel_hi:[1,0,0]
	ds_write_b64 v190, v[56:57] offset:768
	v_mov_b32_e32 v47, v35
	v_pk_add_f32 v[34:35], v[48:49], v[46:47]
	v_pk_add_f32 v[50:51], v[48:49], v[46:47] neg_lo:[0,1] neg_hi:[0,1]
	v_pk_fma_f32 v[34:35], v[34:35], 0.5, v[44:45] op_sel_hi:[1,0,1] neg_lo:[1,0,0] neg_hi:[1,0,0]
	v_pk_mul_f32 v[50:51], v[50:51], s[8:9] op_sel_hi:[1,0]
	v_mad_legacy_u16 v44, v78, s9, v79
	v_pk_add_f32 v[52:53], v[34:35], v[50:51] op_sel:[0,1] op_sel_hi:[1,0] neg_lo:[0,1] neg_hi:[0,1]
	v_pk_add_f32 v[34:35], v[34:35], v[50:51] op_sel:[0,1] op_sel_hi:[1,0]
	v_pk_add_f32 v[32:33], v[32:33], v[46:47]
	v_lshlrev_b32_e32 v191, 3, v44
	v_mov_b32_e32 v44, v34
	v_mov_b32_e32 v45, v53
	s_mov_b32 s9, 0xe38f
	ds_write2_b64 v191, v[32:33], v[44:45] offset1:48
	v_mul_u32_u24_sdwa v32, v114, s9 dst_sel:DWORD dst_unused:UNUSED_PAD src0_sel:WORD_0 src1_sel:DWORD
	v_lshrrev_b32_e32 v81, 23, v32
	v_mul_lo_u16_e32 v32, 0x90, v81
	v_sub_u16_e32 v83, v114, v32
	v_lshlrev_b16_e32 v120, 4, v83
	v_mov_b32_e32 v53, v35
	v_lshl_add_u64 v[32:33], s[6:7], 0, v[120:121]
	ds_write_b64 v191, v[52:53] offset:768
	s_waitcnt lgkmcnt(0)
	s_barrier
	global_load_dwordx4 v[32:35], v[32:33], off offset:1024
	v_mul_u32_u24_sdwa v44, v72, s9 dst_sel:DWORD dst_unused:UNUSED_PAD src0_sel:WORD_0 src1_sel:DWORD
	v_lshrrev_b32_e32 v92, 23, v44
	v_mul_lo_u16_e32 v44, 0x90, v92
	v_sub_u16_e32 v93, v72, v44
	v_lshlrev_b16_e32 v120, 4, v93
	v_lshl_add_u64 v[44:45], s[6:7], 0, v[120:121]
	global_load_dwordx4 v[44:47], v[44:45], off offset:1024
	v_mul_u32_u24_sdwa v48, v82, s9 dst_sel:DWORD dst_unused:UNUSED_PAD src0_sel:WORD_0 src1_sel:DWORD
	v_lshrrev_b32_e32 v94, 23, v48
	v_mul_lo_u16_e32 v48, 0x90, v94
	v_sub_u16_e32 v95, v82, v48
	v_lshlrev_b16_e32 v120, 4, v95
	v_lshl_add_u64 v[48:49], s[6:7], 0, v[120:121]
	global_load_dwordx4 v[48:51], v[48:49], off offset:1024
	ds_read_b64 v[52:53], v117 offset:10368
	ds_read_b64 v[54:55], v117 offset:18144
	ds_read_b64 v[56:57], v117 offset:15552
	ds_read_b64 v[58:59], v117 offset:12960
	s_waitcnt vmcnt(2) lgkmcnt(3)
	v_pk_mul_f32 v[60:61], v[52:53], v[32:33] op_sel:[0,1]
	s_nop 0
	v_pk_fma_f32 v[64:65], v[52:53], v[32:33], v[60:61] op_sel:[0,0,1] op_sel_hi:[1,1,0] neg_lo:[0,0,1] neg_hi:[0,0,1]
	v_pk_fma_f32 v[52:53], v[52:53], v[32:33], v[60:61] op_sel:[0,0,1] op_sel_hi:[1,0,0]
	v_mov_b32_e32 v66, v35
	v_mul_u32_u24_sdwa v52, v80, s9 dst_sel:DWORD dst_unused:UNUSED_PAD src0_sel:WORD_0 src1_sel:DWORD
	v_lshrrev_b32_e32 v96, 23, v52
	v_mul_lo_u16_e32 v52, 0x90, v96
	v_sub_u16_e32 v97, v80, v52
	v_lshlrev_b16_e32 v120, 4, v97
	v_lshl_add_u64 v[60:61], s[6:7], 0, v[120:121]
	global_load_dwordx4 v[60:63], v[60:61], off offset:1024
	v_mov_b32_e32 v65, v53
	ds_read_b64 v[52:53], v117 offset:20736
	ds_read_b64 v[68:69], v117 offset:28512
	;; [unrolled: 1-line block ×4, first 2 shown]
	s_waitcnt lgkmcnt(3)
	v_pk_mul_f32 v[66:67], v[52:53], v[66:67] op_sel_hi:[1,0]
	s_nop 0
	v_pk_fma_f32 v[76:77], v[52:53], v[34:35], v[66:67] op_sel:[0,0,1] op_sel_hi:[1,1,0] neg_lo:[0,0,1] neg_hi:[0,0,1]
	v_pk_fma_f32 v[52:53], v[52:53], v[34:35], v[66:67] op_sel:[0,0,1] op_sel_hi:[1,0,0]
	s_nop 0
	v_mov_b32_e32 v77, v53
	ds_read_b64 v[52:53], v117
	v_pk_add_f32 v[66:67], v[64:65], v[76:77]
	v_pk_add_f32 v[88:89], v[64:65], v[76:77] neg_lo:[0,1] neg_hi:[0,1]
	ds_read_b64 v[78:79], v117 offset:7776
	ds_read_b64 v[84:85], v117 offset:5184
	;; [unrolled: 1-line block ×3, first 2 shown]
	v_pk_mul_f32 v[88:89], v[88:89], s[8:9] op_sel_hi:[1,0]
	s_waitcnt lgkmcnt(3)
	v_pk_fma_f32 v[66:67], v[66:67], 0.5, v[52:53] op_sel_hi:[1,0,1] neg_lo:[1,0,0] neg_hi:[1,0,0]
	s_movk_i32 s9, 0x1b0
	v_pk_add_f32 v[90:91], v[66:67], v[88:89] op_sel:[0,1] op_sel_hi:[1,0] neg_lo:[0,1] neg_hi:[0,1]
	v_pk_add_f32 v[66:67], v[66:67], v[88:89] op_sel:[0,1] op_sel_hi:[1,0]
	v_pk_add_f32 v[52:53], v[52:53], v[64:65]
	v_mad_legacy_u16 v64, v81, s9, v83
	v_pk_add_f32 v[52:53], v[52:53], v[76:77]
	v_lshlrev_b32_e32 v192, 3, v64
	v_mov_b32_e32 v64, v66
	v_mov_b32_e32 v65, v91
	s_waitcnt lgkmcnt(0)
	s_barrier
	ds_write2_b64 v192, v[52:53], v[64:65] offset1:144
	s_waitcnt vmcnt(2)
	v_pk_mul_f32 v[52:53], v[58:59], v[44:45] op_sel:[0,1]
	v_mov_b32_e32 v91, v67
	v_pk_fma_f32 v[64:65], v[58:59], v[44:45], v[52:53] op_sel:[0,0,1] op_sel_hi:[1,1,0] neg_lo:[0,0,1] neg_hi:[0,0,1]
	v_pk_fma_f32 v[52:53], v[58:59], v[44:45], v[52:53] op_sel:[0,0,1] op_sel_hi:[1,0,0]
	ds_write_b64 v192, v[90:91] offset:2304
	v_mov_b32_e32 v52, v47
	v_mov_b32_e32 v65, v53
	v_pk_mul_f32 v[52:53], v[74:75], v[52:53] op_sel_hi:[1,0]
	s_nop 0
	v_pk_fma_f32 v[58:59], v[74:75], v[46:47], v[52:53] op_sel:[0,0,1] op_sel_hi:[1,1,0] neg_lo:[0,0,1] neg_hi:[0,0,1]
	v_pk_fma_f32 v[52:53], v[74:75], v[46:47], v[52:53] op_sel:[0,0,1] op_sel_hi:[1,0,0]
	s_nop 0
	v_mov_b32_e32 v59, v53
	v_pk_add_f32 v[52:53], v[64:65], v[58:59]
	v_pk_add_f32 v[74:75], v[64:65], v[58:59] neg_lo:[0,1] neg_hi:[0,1]
	v_pk_fma_f32 v[52:53], v[52:53], 0.5, v[86:87] op_sel_hi:[1,0,1] neg_lo:[1,0,0] neg_hi:[1,0,0]
	v_pk_mul_f32 v[74:75], v[74:75], s[8:9] op_sel_hi:[1,0]
	v_pk_add_f32 v[64:65], v[86:87], v[64:65]
	v_pk_add_f32 v[76:77], v[52:53], v[74:75] op_sel:[0,1] op_sel_hi:[1,0] neg_lo:[0,1] neg_hi:[0,1]
	v_pk_add_f32 v[52:53], v[52:53], v[74:75] op_sel:[0,1] op_sel_hi:[1,0]
	v_pk_add_f32 v[58:59], v[64:65], v[58:59]
	v_mad_legacy_u16 v64, v92, s9, v93
	v_lshlrev_b32_e32 v193, 3, v64
	v_mov_b32_e32 v64, v52
	v_mov_b32_e32 v65, v77
	ds_write2_b64 v193, v[58:59], v[64:65] offset1:144
	s_waitcnt vmcnt(1)
	v_pk_mul_f32 v[58:59], v[56:57], v[48:49] op_sel:[0,1]
	v_mov_b32_e32 v52, v51
	v_pk_fma_f32 v[64:65], v[56:57], v[48:49], v[58:59] op_sel:[0,0,1] op_sel_hi:[1,1,0] neg_lo:[0,0,1] neg_hi:[0,0,1]
	v_pk_fma_f32 v[56:57], v[56:57], v[48:49], v[58:59] op_sel:[0,0,1] op_sel_hi:[1,0,0]
	v_mov_b32_e32 v77, v53
	v_mov_b32_e32 v65, v57
	v_pk_mul_f32 v[56:57], v[70:71], v[52:53] op_sel_hi:[1,0]
	v_pk_add_f32 v[52:53], v[84:85], v[64:65]
	v_pk_fma_f32 v[58:59], v[70:71], v[50:51], v[56:57] op_sel:[0,0,1] op_sel_hi:[1,1,0] neg_lo:[0,0,1] neg_hi:[0,0,1]
	v_pk_fma_f32 v[56:57], v[70:71], v[50:51], v[56:57] op_sel:[0,0,1] op_sel_hi:[1,0,0]
	ds_write_b64 v193, v[76:77] offset:2304
	v_mov_b32_e32 v59, v57
	v_pk_add_f32 v[56:57], v[64:65], v[58:59]
	v_pk_add_f32 v[66:67], v[64:65], v[58:59] neg_lo:[0,1] neg_hi:[0,1]
	v_pk_fma_f32 v[56:57], v[56:57], 0.5, v[84:85] op_sel_hi:[1,0,1] neg_lo:[1,0,0] neg_hi:[1,0,0]
	v_pk_mul_f32 v[66:67], v[66:67], s[8:9] op_sel_hi:[1,0]
	v_pk_add_f32 v[52:53], v[52:53], v[58:59]
	v_pk_add_f32 v[70:71], v[56:57], v[66:67] op_sel:[0,1] op_sel_hi:[1,0] neg_lo:[0,1] neg_hi:[0,1]
	v_pk_add_f32 v[56:57], v[56:57], v[66:67] op_sel:[0,1] op_sel_hi:[1,0]
	v_mad_legacy_u16 v58, v94, s9, v95
	v_lshlrev_b32_e32 v194, 3, v58
	v_mov_b32_e32 v58, v56
	v_mov_b32_e32 v59, v71
	ds_write2_b64 v194, v[52:53], v[58:59] offset1:144
	s_waitcnt vmcnt(0)
	v_pk_mul_f32 v[52:53], v[54:55], v[60:61] op_sel:[0,1]
	v_mov_b32_e32 v71, v57
	v_pk_fma_f32 v[58:59], v[54:55], v[60:61], v[52:53] op_sel:[0,0,1] op_sel_hi:[1,1,0] neg_lo:[0,0,1] neg_hi:[0,0,1]
	v_pk_fma_f32 v[52:53], v[54:55], v[60:61], v[52:53] op_sel:[0,0,1] op_sel_hi:[1,0,0]
	ds_write_b64 v194, v[70:71] offset:2304
	v_mov_b32_e32 v52, v63
	v_mov_b32_e32 v59, v53
	v_pk_mul_f32 v[52:53], v[68:69], v[52:53] op_sel_hi:[1,0]
	v_pk_add_f32 v[56:57], v[78:79], v[58:59]
	v_pk_fma_f32 v[54:55], v[68:69], v[62:63], v[52:53] op_sel:[0,0,1] op_sel_hi:[1,1,0] neg_lo:[0,0,1] neg_hi:[0,0,1]
	v_pk_fma_f32 v[52:53], v[68:69], v[62:63], v[52:53] op_sel:[0,0,1] op_sel_hi:[1,0,0]
	v_lshl_add_u64 v[76:77], s[6:7], 0, v[118:119]
	v_mov_b32_e32 v55, v53
	v_pk_add_f32 v[52:53], v[58:59], v[54:55]
	v_pk_add_f32 v[64:65], v[58:59], v[54:55] neg_lo:[0,1] neg_hi:[0,1]
	v_pk_fma_f32 v[52:53], v[52:53], 0.5, v[78:79] op_sel_hi:[1,0,1] neg_lo:[1,0,0] neg_hi:[1,0,0]
	v_pk_mul_f32 v[64:65], v[64:65], s[8:9] op_sel_hi:[1,0]
	v_pk_add_f32 v[54:55], v[56:57], v[54:55]
	v_pk_add_f32 v[66:67], v[52:53], v[64:65] op_sel:[0,1] op_sel_hi:[1,0] neg_lo:[0,1] neg_hi:[0,1]
	v_pk_add_f32 v[52:53], v[52:53], v[64:65] op_sel:[0,1] op_sel_hi:[1,0]
	v_mad_legacy_u16 v56, v96, s9, v97
	v_lshlrev_b32_e32 v195, 3, v56
	v_mov_b32_e32 v56, v52
	v_lshrrev_b16_e32 v52, 4, v82
	v_mul_u32_u24_e32 v52, 0x12f7, v52
	v_lshrrev_b32_e32 v81, 17, v52
	v_mul_lo_u16_e32 v52, 0x1b0, v81
	v_sub_u16_e32 v83, v82, v52
	v_lshrrev_b16_e32 v52, 4, v80
	v_mul_u32_u24_e32 v52, 0x12f7, v52
	v_lshrrev_b32_e32 v52, 17, v52
	v_mul_lo_u16_e32 v52, 0x1b0, v52
	v_lshlrev_b16_e32 v120, 4, v83
	v_sub_u16_e32 v113, v80, v52
	v_mov_b32_e32 v57, v67
	v_mov_b32_e32 v67, v53
	v_lshl_add_u64 v[64:65], s[6:7], 0, v[120:121]
	v_lshlrev_b16_e32 v120, 4, v113
	ds_write_b64 v195, v[66:67] offset:2304
	v_lshl_add_u64 v[66:67], s[6:7], 0, v[120:121]
	ds_write2_b64 v195, v[54:55], v[56:57] offset1:144
	s_waitcnt lgkmcnt(0)
	s_barrier
	global_load_dwordx4 v[52:55], v[66:67], off offset:3328
	global_load_dwordx4 v[56:59], v[64:65], off offset:3328
	s_movk_i32 s9, 0x6c
	v_lshl_add_u64 v[64:65], v[114:115], 0, s[10:11]
	v_cmp_gt_u16_e32 vcc, s9, v114
	global_load_dwordx4 v[68:71], v[76:77], off offset:3328
	v_lshlrev_b32_e32 v196, 3, v113
	v_cndmask_b32_e32 v75, v65, v73, vcc
	v_cndmask_b32_e32 v74, v64, v72, vcc
	v_lshl_add_u64 v[64:65], v[74:75], 4, s[6:7]
	global_load_dwordx4 v[64:67], v[64:65], off offset:3328
	ds_read_b64 v[78:79], v117 offset:18144
	ds_read_b64 v[84:85], v117 offset:15552
	;; [unrolled: 1-line block ×4, first 2 shown]
	v_mov_b32_e32 v73, 0x510
	v_lshlrev_b32_e32 v120, 4, v72
	s_waitcnt vmcnt(3) lgkmcnt(3)
	v_pk_mul_f32 v[86:87], v[78:79], v[52:53] op_sel:[0,1]
	s_nop 0
	v_pk_fma_f32 v[88:89], v[78:79], v[52:53], v[86:87] op_sel:[0,0,1] op_sel_hi:[1,1,0] neg_lo:[0,0,1] neg_hi:[0,0,1]
	v_pk_fma_f32 v[78:79], v[78:79], v[52:53], v[86:87] op_sel:[0,0,1] op_sel_hi:[1,0,0]
	ds_read_b64 v[86:87], v117 offset:25920
	v_mov_b32_e32 v78, v55
	v_mov_b32_e32 v89, v79
	s_waitcnt lgkmcnt(2)
	v_pk_mul_f32 v[78:79], v[90:91], v[78:79] op_sel_hi:[1,0]
	s_waitcnt vmcnt(2)
	v_pk_mul_f32 v[100:101], v[84:85], v[56:57] op_sel:[0,1]
	v_pk_fma_f32 v[92:93], v[90:91], v[54:55], v[78:79] op_sel:[0,0,1] op_sel_hi:[1,1,0] neg_lo:[0,0,1] neg_hi:[0,0,1]
	v_pk_fma_f32 v[78:79], v[90:91], v[54:55], v[78:79] op_sel:[0,0,1] op_sel_hi:[1,0,0]
	v_pk_fma_f32 v[102:103], v[84:85], v[56:57], v[100:101] op_sel:[0,0,1] op_sel_hi:[1,1,0] neg_lo:[0,0,1] neg_hi:[0,0,1]
	v_mov_b32_e32 v93, v79
	v_pk_add_f32 v[78:79], v[88:89], v[92:93]
	v_pk_add_f32 v[96:97], v[88:89], v[92:93] neg_lo:[0,1] neg_hi:[0,1]
	v_pk_fma_f32 v[84:85], v[84:85], v[56:57], v[100:101] op_sel:[0,0,1] op_sel_hi:[1,0,0]
	ds_read_b64 v[100:101], v117 offset:23328
	ds_read_b64 v[90:91], v117 offset:5184
	s_waitcnt lgkmcnt(3)
	v_pk_fma_f32 v[78:79], v[78:79], 0.5, v[94:95] op_sel_hi:[1,0,1] neg_lo:[1,0,0] neg_hi:[1,0,0]
	v_pk_mul_f32 v[96:97], v[96:97], s[8:9] op_sel_hi:[1,0]
	v_mov_b32_e32 v84, v59
	v_pk_add_f32 v[98:99], v[78:79], v[96:97] op_sel:[0,1] op_sel_hi:[1,0] neg_lo:[0,1] neg_hi:[0,1]
	v_pk_add_f32 v[78:79], v[78:79], v[96:97] op_sel:[0,1] op_sel_hi:[1,0]
	ds_read_b64 v[96:97], v117 offset:12960
	v_mov_b32_e32 v103, v85
	s_waitcnt lgkmcnt(3)
	v_pk_mul_f32 v[84:85], v[86:87], v[84:85] op_sel_hi:[1,0]
	s_nop 0
	v_pk_fma_f32 v[104:105], v[86:87], v[58:59], v[84:85] op_sel:[0,0,1] op_sel_hi:[1,1,0] neg_lo:[0,0,1] neg_hi:[0,0,1]
	v_pk_fma_f32 v[84:85], v[86:87], v[58:59], v[84:85] op_sel:[0,0,1] op_sel_hi:[1,0,0]
	ds_read_b64 v[86:87], v117 offset:2592
	v_mov_b32_e32 v105, v85
	v_pk_add_f32 v[106:107], v[102:103], v[104:105] neg_lo:[0,1] neg_hi:[0,1]
	v_pk_add_f32 v[84:85], v[102:103], v[104:105]
	v_pk_mul_f32 v[106:107], v[106:107], s[8:9] op_sel_hi:[1,0]
	s_movk_i32 s9, 0x6b
	v_cmp_lt_u16_e32 vcc, s9, v114
	s_waitcnt lgkmcnt(2)
	v_pk_fma_f32 v[84:85], v[84:85], 0.5, v[90:91] op_sel_hi:[1,0,1] neg_lo:[1,0,0] neg_hi:[1,0,0]
	v_cndmask_b32_e32 v73, 0, v73, vcc
	v_pk_add_f32 v[108:109], v[84:85], v[106:107] op_sel:[0,1] op_sel_hi:[1,0] neg_lo:[0,1] neg_hi:[0,1]
	v_pk_add_f32 v[84:85], v[84:85], v[106:107] op_sel:[0,1] op_sel_hi:[1,0]
	v_add_lshl_u32 v115, v74, v73, 3
	ds_read_b64 v[74:75], v117 offset:10368
	s_waitcnt vmcnt(0) lgkmcnt(2)
	v_pk_mul_f32 v[106:107], v[96:97], v[64:65] op_sel:[0,1]
	s_nop 0
	v_pk_fma_f32 v[110:111], v[96:97], v[64:65], v[106:107] op_sel:[0,0,1] op_sel_hi:[1,1,0] neg_lo:[0,0,1] neg_hi:[0,0,1]
	v_pk_fma_f32 v[96:97], v[96:97], v[64:65], v[106:107] op_sel:[0,0,1] op_sel_hi:[1,0,0]
	ds_read_b64 v[106:107], v117 offset:20736
	v_mov_b32_e32 v96, v67
	v_mov_b32_e32 v111, v97
	v_pk_mul_f32 v[96:97], v[100:101], v[96:97] op_sel_hi:[1,0]
	s_nop 0
	v_pk_fma_f32 v[122:123], v[100:101], v[66:67], v[96:97] op_sel:[0,0,1] op_sel_hi:[1,1,0] neg_lo:[0,0,1] neg_hi:[0,0,1]
	v_pk_fma_f32 v[96:97], v[100:101], v[66:67], v[96:97] op_sel:[0,0,1] op_sel_hi:[1,0,0]
	s_nop 0
	v_mov_b32_e32 v123, v97
	s_waitcnt lgkmcnt(1)
	v_pk_mul_f32 v[96:97], v[74:75], v[68:69] op_sel:[0,1]
	s_nop 0
	v_pk_fma_f32 v[100:101], v[74:75], v[68:69], v[96:97] op_sel:[0,0,1] op_sel_hi:[1,1,0] neg_lo:[0,0,1] neg_hi:[0,0,1]
	v_pk_fma_f32 v[74:75], v[74:75], v[68:69], v[96:97] op_sel:[0,0,1] op_sel_hi:[1,0,0]
	ds_read_b64 v[96:97], v117
	v_mov_b32_e32 v74, v71
	v_mov_b32_e32 v101, v75
	s_waitcnt lgkmcnt(1)
	v_pk_mul_f32 v[74:75], v[106:107], v[74:75] op_sel_hi:[1,0]
	s_waitcnt lgkmcnt(0)
	v_pk_fma_f32 v[124:125], v[106:107], v[70:71], v[74:75] op_sel:[0,0,1] op_sel_hi:[1,1,0] neg_lo:[0,0,1] neg_hi:[0,0,1]
	v_pk_fma_f32 v[74:75], v[106:107], v[70:71], v[74:75] op_sel:[0,0,1] op_sel_hi:[1,0,0]
	s_barrier
	v_mov_b32_e32 v125, v75
	v_pk_add_f32 v[74:75], v[100:101], v[124:125]
	v_pk_add_f32 v[106:107], v[100:101], v[124:125] neg_lo:[0,1] neg_hi:[0,1]
	v_pk_fma_f32 v[74:75], v[74:75], 0.5, v[96:97] op_sel_hi:[1,0,1] neg_lo:[1,0,0] neg_hi:[1,0,0]
	v_pk_mul_f32 v[106:107], v[106:107], s[8:9] op_sel_hi:[1,0]
	v_pk_add_f32 v[96:97], v[96:97], v[100:101]
	v_pk_add_f32 v[126:127], v[74:75], v[106:107] op_sel:[0,1] op_sel_hi:[1,0] neg_lo:[0,1] neg_hi:[0,1]
	v_pk_add_f32 v[74:75], v[74:75], v[106:107] op_sel:[0,1] op_sel_hi:[1,0]
	v_pk_add_f32 v[96:97], v[96:97], v[124:125]
	ds_write_b64 v117, v[96:97]
	v_mov_b32_e32 v96, v74
	v_mov_b32_e32 v97, v127
	;; [unrolled: 1-line block ×3, first 2 shown]
	v_pk_add_f32 v[74:75], v[86:87], v[110:111]
	ds_write_b64 v117, v[96:97] offset:3456
	v_pk_add_f32 v[74:75], v[74:75], v[122:123]
	ds_write_b64 v117, v[126:127] offset:6912
	ds_write_b64 v115, v[74:75]
	v_pk_add_f32 v[74:75], v[110:111], v[122:123]
	s_nop 0
	v_pk_fma_f32 v[74:75], v[74:75], 0.5, v[86:87] op_sel_hi:[1,0,1] neg_lo:[1,0,0] neg_hi:[1,0,0]
	v_pk_add_f32 v[86:87], v[110:111], v[122:123] neg_lo:[0,1] neg_hi:[0,1]
	s_nop 0
	v_pk_mul_f32 v[86:87], v[86:87], s[8:9] op_sel_hi:[1,0]
	s_movk_i32 s9, 0x510
	v_pk_add_f32 v[96:97], v[74:75], v[86:87] op_sel:[0,1] op_sel_hi:[1,0]
	v_pk_add_f32 v[74:75], v[74:75], v[86:87] op_sel:[0,1] op_sel_hi:[1,0] neg_lo:[0,1] neg_hi:[0,1]
	v_mad_legacy_u16 v73, v81, s9, v83
	v_mov_b32_e32 v87, v75
	v_mov_b32_e32 v75, v97
	ds_write_b64 v115, v[74:75] offset:6912
	v_pk_add_f32 v[74:75], v[90:91], v[102:103]
	v_mov_b32_e32 v86, v96
	v_pk_add_f32 v[74:75], v[74:75], v[104:105]
	v_lshlrev_b32_e32 v119, 3, v73
	ds_write_b64 v115, v[86:87] offset:3456
	ds_write_b64 v119, v[74:75]
	v_mov_b32_e32 v74, v84
	v_mov_b32_e32 v75, v109
	ds_write_b64 v119, v[74:75] offset:3456
	v_pk_add_f32 v[74:75], v[94:95], v[88:89]
	v_mov_b32_e32 v109, v85
	v_pk_add_f32 v[74:75], v[74:75], v[92:93]
	ds_write_b64 v119, v[108:109] offset:6912
	ds_write_b64 v196, v[74:75] offset:20736
	v_mov_b32_e32 v74, v78
	v_mov_b32_e32 v75, v99
	s_movk_i32 s9, 0x2000
	ds_write_b64 v196, v[74:75] offset:24192
	v_add_co_u32_e32 v74, vcc, s9, v76
	v_mov_b32_e32 v99, v79
	s_nop 0
	v_addc_co_u32_e32 v75, vcc, 0, v77, vcc
	ds_write_b64 v196, v[98:99] offset:27648
	s_waitcnt lgkmcnt(0)
	s_barrier
	global_load_dwordx4 v[76:79], v[74:75], off offset:2048
	v_lshl_add_u64 v[72:73], s[6:7], 0, v[120:121]
	v_add_co_u32_e32 v72, vcc, s9, v72
	v_lshlrev_b32_e32 v120, 4, v82
	s_nop 0
	v_addc_co_u32_e32 v73, vcc, 0, v73, vcc
	v_lshl_add_u64 v[82:83], s[6:7], 0, v[120:121]
	v_add_co_u32_e32 v82, vcc, s9, v82
	v_lshlrev_b32_e32 v120, 4, v80
	s_nop 0
	v_addc_co_u32_e32 v83, vcc, 0, v83, vcc
	global_load_dwordx4 v[84:87], v[82:83], off offset:2048
	v_lshl_add_u64 v[80:81], s[6:7], 0, v[120:121]
	global_load_dwordx4 v[72:75], v[72:73], off offset:2048
	v_add_co_u32_e32 v80, vcc, s9, v80
	ds_read_b64 v[88:89], v117 offset:10368
	s_nop 0
	v_addc_co_u32_e32 v81, vcc, 0, v81, vcc
	global_load_dwordx4 v[80:83], v[80:81], off offset:2048
	ds_read_b64 v[92:93], v117 offset:12960
	ds_read_b64 v[94:95], v117 offset:15552
	;; [unrolled: 1-line block ×3, first 2 shown]
	s_waitcnt lgkmcnt(3)
	v_mov_b32_e32 v98, v89
	s_waitcnt lgkmcnt(0)
	v_mov_b32_e32 v120, v97
	s_waitcnt vmcnt(3)
	v_mov_b32_e32 v90, v77
	v_pk_mul_f32 v[90:91], v[88:89], v[90:91]
	v_pk_mul_f32 v[88:89], v[88:89], v[76:77]
	v_pk_fma_f32 v[90:91], v[98:99], v[76:77], v[90:91]
	ds_read_b64 v[98:99], v117 offset:20736
	v_mov_b32_e32 v108, v88
	ds_read_b64 v[100:101], v117 offset:23328
	ds_read_b64 v[102:103], v117 offset:25920
	;; [unrolled: 1-line block ×3, first 2 shown]
	ds_read_b64 v[126:127], v117
	ds_read_b64 v[128:129], v117 offset:2592
	ds_read_b64 v[130:131], v117 offset:5184
	;; [unrolled: 1-line block ×3, first 2 shown]
	s_waitcnt lgkmcnt(7)
	v_pk_mul_f32 v[106:107], v[98:99], v[78:79]
	s_nop 0
	v_mov_b32_e32 v109, v106
	v_mov_b32_e32 v106, v89
	v_pk_add_f32 v[88:89], v[108:109], v[106:107] neg_lo:[0,1] neg_hi:[0,1]
	v_mov_b32_e32 v106, v79
	v_pk_mul_f32 v[106:107], v[98:99], v[106:107]
	v_mov_b32_e32 v98, v99
	v_pk_fma_f32 v[98:99], v[98:99], v[78:79], v[106:107]
	s_waitcnt vmcnt(1)
	v_mov_b32_e32 v106, v73
	v_pk_mul_f32 v[106:107], v[92:93], v[106:107]
	v_mov_b32_e32 v108, v93
	v_pk_mul_f32 v[92:93], v[92:93], v[72:73]
	v_pk_fma_f32 v[106:107], v[108:109], v[72:73], v[106:107]
	s_waitcnt lgkmcnt(6)
	v_pk_mul_f32 v[108:109], v[100:101], v[74:75]
	v_mov_b32_e32 v110, v92
	v_mov_b32_e32 v92, v75
	;; [unrolled: 1-line block ×4, first 2 shown]
	v_pk_mul_f32 v[92:93], v[100:101], v[92:93]
	v_mov_b32_e32 v100, v101
	v_pk_fma_f32 v[92:93], v[100:101], v[74:75], v[92:93]
	v_mov_b32_e32 v100, v85
	v_pk_add_f32 v[108:109], v[110:111], v[108:109] neg_lo:[0,1] neg_hi:[0,1]
	v_pk_mul_f32 v[100:101], v[94:95], v[100:101]
	v_mov_b32_e32 v110, v95
	v_pk_mul_f32 v[94:95], v[94:95], v[84:85]
	v_pk_fma_f32 v[100:101], v[110:111], v[84:85], v[100:101]
	s_waitcnt lgkmcnt(5)
	v_pk_mul_f32 v[110:111], v[102:103], v[86:87]
	v_mov_b32_e32 v122, v94
	v_mov_b32_e32 v94, v87
	;; [unrolled: 1-line block ×4, first 2 shown]
	v_pk_mul_f32 v[94:95], v[102:103], v[94:95]
	v_mov_b32_e32 v102, v103
	v_pk_fma_f32 v[102:103], v[102:103], v[86:87], v[94:95]
	s_waitcnt vmcnt(0)
	v_mov_b32_e32 v94, v81
	v_pk_mul_f32 v[94:95], v[96:97], v[94:95]
	v_pk_add_f32 v[110:111], v[122:123], v[110:111] neg_lo:[0,1] neg_hi:[0,1]
	v_pk_fma_f32 v[122:123], v[120:121], v[80:81], v[94:95]
	v_pk_mul_f32 v[94:95], v[96:97], v[80:81]
	s_waitcnt lgkmcnt(4)
	v_pk_mul_f32 v[96:97], v[104:105], v[82:83]
	v_mov_b32_e32 v124, v94
	v_mov_b32_e32 v125, v96
	;; [unrolled: 1-line block ×4, first 2 shown]
	v_pk_add_f32 v[124:125], v[124:125], v[96:97] neg_lo:[0,1] neg_hi:[0,1]
	v_pk_mul_f32 v[94:95], v[104:105], v[94:95]
	v_mov_b32_e32 v96, v105
	v_pk_fma_f32 v[104:105], v[96:97], v[82:83], v[94:95]
	v_mov_b32_e32 v95, v88
	v_pk_add_f32 v[94:95], v[94:95], v[88:89] neg_lo:[0,1] neg_hi:[0,1]
	v_pk_add_f32 v[96:97], v[90:91], v[98:99] neg_lo:[0,1] neg_hi:[0,1]
	v_add_f32_e32 v94, v90, v98
	v_mov_b32_e32 v91, v90
	v_mov_b32_e32 v90, v88
	v_add_f32_e32 v88, v88, v89
	v_mov_b32_e32 v99, v98
	v_mov_b32_e32 v98, v89
	v_mul_f32_e32 v88, 0.5, v88
	v_mul_f32_e32 v89, 0.5, v94
	v_mov_b32_e32 v97, v95
	v_mov_b32_e32 v95, v106
	;; [unrolled: 1-line block ×3, first 2 shown]
	s_waitcnt lgkmcnt(3)
	v_pk_add_f32 v[90:91], v[126:127], v[90:91]
	v_pk_add_f32 v[88:89], v[126:127], v[88:89] neg_lo:[0,1] neg_hi:[0,1]
	v_add_f32_e32 v113, v106, v92
	v_pk_add_f32 v[126:127], v[106:107], v[92:93] neg_lo:[0,1] neg_hi:[0,1]
	s_waitcnt lgkmcnt(2)
	v_pk_add_f32 v[94:95], v[128:129], v[94:95]
	v_mov_b32_e32 v93, v92
	v_mov_b32_e32 v92, v109
	v_pk_add_f32 v[94:95], v[94:95], v[92:93]
	v_pk_fma_f32 v[92:93], v[96:97], s[8:9], v[88:89] op_sel_hi:[1,0,1] neg_lo:[1,0,0] neg_hi:[1,0,0]
	v_pk_fma_f32 v[96:97], v[96:97], s[8:9], v[88:89] op_sel_hi:[1,0,1]
	v_pk_add_f32 v[88:89], v[90:91], v[98:99]
	v_mov_b32_e32 v91, v93
	v_mov_b32_e32 v93, v97
	;; [unrolled: 1-line block ×4, first 2 shown]
	v_pk_add_f32 v[96:97], v[96:97], v[108:109] neg_lo:[0,1] neg_hi:[0,1]
	v_mul_f32_e32 v99, 0.5, v113
	v_add_f32_e32 v96, v108, v109
	v_mul_f32_e32 v98, 0.5, v96
	v_pk_add_f32 v[98:99], v[128:129], v[98:99] neg_lo:[0,1] neg_hi:[0,1]
	v_mov_b32_e32 v127, v97
	v_pk_fma_f32 v[106:107], v[126:127], s[8:9], v[98:99] op_sel_hi:[1,0,1]
	v_pk_fma_f32 v[98:99], v[126:127], s[8:9], v[98:99] op_sel_hi:[1,0,1] neg_lo:[1,0,0] neg_hi:[1,0,0]
	v_mov_b32_e32 v96, v106
	v_mov_b32_e32 v97, v99
	;; [unrolled: 1-line block ×4, first 2 shown]
	v_pk_add_f32 v[106:107], v[106:107], v[110:111] neg_lo:[0,1] neg_hi:[0,1]
	v_pk_add_f32 v[108:109], v[100:101], v[102:103] neg_lo:[0,1] neg_hi:[0,1]
	v_add_f32_e32 v106, v100, v102
	v_add_f32_e32 v109, v110, v111
	v_mov_b32_e32 v101, v100
	v_mov_b32_e32 v100, v110
	;; [unrolled: 1-line block ×4, first 2 shown]
	v_mul_f32_e32 v110, 0.5, v109
	v_mul_f32_e32 v111, 0.5, v106
	v_mov_b32_e32 v109, v107
	v_mov_b32_e32 v107, v122
	;; [unrolled: 1-line block ×3, first 2 shown]
	s_waitcnt lgkmcnt(1)
	v_pk_add_f32 v[110:111], v[130:131], v[110:111] neg_lo:[0,1] neg_hi:[0,1]
	v_add_f32_e32 v113, v122, v104
	v_pk_add_f32 v[126:127], v[122:123], v[104:105] neg_lo:[0,1] neg_hi:[0,1]
	s_waitcnt lgkmcnt(0)
	v_pk_add_f32 v[106:107], v[132:133], v[106:107]
	v_mov_b32_e32 v105, v104
	v_mov_b32_e32 v104, v125
	v_pk_add_f32 v[100:101], v[130:131], v[100:101]
	v_pk_add_f32 v[106:107], v[106:107], v[104:105]
	v_pk_fma_f32 v[104:105], v[108:109], s[8:9], v[110:111] op_sel_hi:[1,0,1] neg_lo:[1,0,0] neg_hi:[1,0,0]
	v_pk_fma_f32 v[108:109], v[108:109], s[8:9], v[110:111] op_sel_hi:[1,0,1]
	v_pk_add_f32 v[100:101], v[100:101], v[102:103]
	v_mov_b32_e32 v103, v105
	v_mov_b32_e32 v105, v109
	v_mov_b32_e32 v109, v124
	v_mov_b32_e32 v102, v108
	v_pk_add_f32 v[108:109], v[108:109], v[124:125] neg_lo:[0,1] neg_hi:[0,1]
	v_mul_f32_e32 v111, 0.5, v113
	v_add_f32_e32 v108, v124, v125
	v_mul_f32_e32 v110, 0.5, v108
	v_pk_add_f32 v[110:111], v[132:133], v[110:111] neg_lo:[0,1] neg_hi:[0,1]
	v_mov_b32_e32 v127, v109
	v_pk_fma_f32 v[122:123], v[126:127], s[8:9], v[110:111] op_sel_hi:[1,0,1]
	v_pk_fma_f32 v[110:111], v[126:127], s[8:9], v[110:111] op_sel_hi:[1,0,1] neg_lo:[1,0,0] neg_hi:[1,0,0]
	v_mov_b32_e32 v108, v122
	v_mov_b32_e32 v109, v111
	;; [unrolled: 1-line block ×3, first 2 shown]
	ds_write_b64 v117, v[88:89]
	ds_write_b64 v117, v[90:91] offset:10368
	ds_write_b64 v117, v[92:93] offset:20736
	;; [unrolled: 1-line block ×11, first 2 shown]
	s_waitcnt lgkmcnt(0)
	s_barrier
	s_and_saveexec_b64 s[6:7], s[4:5]
	s_cbranch_execz .LBB0_11
; %bb.10:
	v_mov_b32_e32 v113, v121
	v_lshl_add_u64 v[120:121], s[12:13], 0, v[112:113]
	v_add_co_u32_e32 v124, vcc, 0x7000, v120
	ds_read_b64 v[122:123], v117
	s_nop 0
	v_addc_co_u32_e32 v125, vcc, 0, v121, vcc
	global_load_dwordx2 v[124:125], v[124:125], off offset:2432
	s_mov_b64 s[8:9], 0x7980
	v_lshl_add_u64 v[126:127], v[120:121], 0, s[8:9]
	s_mov_b32 s8, 0x9000
	s_waitcnt vmcnt(0) lgkmcnt(0)
	v_mul_f32_e32 v113, v123, v125
	v_mul_f32_e32 v129, v122, v125
	v_fma_f32 v128, v122, v124, -v113
	v_fmac_f32_e32 v129, v123, v124
	ds_write_b64 v117, v[128:129]
	global_load_dwordx2 v[128:129], v[126:127], off offset:1944
	v_add_u32_e32 v113, 0x780, v112
	ds_read2_b64 v[122:125], v113 offset0:3 offset1:246
	s_waitcnt vmcnt(0) lgkmcnt(0)
	v_mul_f32_e32 v130, v123, v129
	v_mul_f32_e32 v131, v122, v129
	v_fma_f32 v130, v122, v128, -v130
	v_fmac_f32_e32 v131, v123, v128
	global_load_dwordx2 v[122:123], v[126:127], off offset:3888
	s_waitcnt vmcnt(0)
	v_mul_f32_e32 v126, v125, v123
	v_mul_f32_e32 v127, v124, v123
	v_fma_f32 v126, v124, v122, -v126
	v_fmac_f32_e32 v127, v125, v122
	ds_write2_b64 v113, v[130:131], v[126:127] offset0:3 offset1:246
	v_add_co_u32_e32 v126, vcc, s8, v120
	ds_read_b64 v[122:123], v112 offset:5832
	s_nop 0
	v_addc_co_u32_e32 v127, vcc, 0, v121, vcc
	global_load_dwordx2 v[124:125], v[126:127], off offset:72
	s_mov_b32 s8, 0xa000
	s_waitcnt vmcnt(0) lgkmcnt(0)
	v_mul_f32_e32 v113, v123, v125
	v_mul_f32_e32 v129, v122, v125
	v_fma_f32 v128, v122, v124, -v113
	v_fmac_f32_e32 v129, v123, v124
	global_load_dwordx2 v[124:125], v[126:127], off offset:2016
	ds_write_b64 v112, v[128:129] offset:5832
	global_load_dwordx2 v[126:127], v[126:127], off offset:3960
	ds_read_b64 v[122:123], v117 offset:7776
	s_waitcnt vmcnt(1) lgkmcnt(0)
	v_mul_f32_e32 v113, v123, v125
	v_mul_f32_e32 v129, v122, v125
	v_fma_f32 v128, v122, v124, -v113
	v_fmac_f32_e32 v129, v123, v124
	ds_write_b64 v117, v[128:129] offset:7776
	v_add_u32_e32 v113, 0x25c0, v112
	ds_read2_b64 v[122:125], v113 offset0:7 offset1:250
	s_waitcnt vmcnt(0) lgkmcnt(0)
	v_mul_f32_e32 v128, v123, v127
	v_fma_f32 v128, v122, v126, -v128
	v_mul_f32_e32 v129, v122, v127
	v_add_co_u32_e32 v122, vcc, s8, v120
	v_fmac_f32_e32 v129, v123, v126
	s_nop 0
	v_addc_co_u32_e32 v123, vcc, 0, v121, vcc
	global_load_dwordx2 v[126:127], v[122:123], off offset:1808
	s_mov_b32 s8, 0xb000
	global_load_dwordx2 v[122:123], v[122:123], off offset:3752
	s_waitcnt vmcnt(1)
	v_mul_f32_e32 v130, v125, v127
	v_mul_f32_e32 v131, v124, v127
	v_fma_f32 v130, v124, v126, -v130
	v_fmac_f32_e32 v131, v125, v126
	ds_read_b64 v[124:125], v112 offset:13608
	ds_write2_b64 v113, v[128:129], v[130:131] offset0:7 offset1:250
	s_waitcnt vmcnt(0) lgkmcnt(1)
	v_mul_f32_e32 v113, v125, v123
	v_mul_f32_e32 v127, v124, v123
	v_fma_f32 v126, v124, v122, -v113
	v_fmac_f32_e32 v127, v125, v122
	ds_write_b64 v112, v[126:127] offset:13608
	v_add_co_u32_e32 v126, vcc, s8, v120
	ds_read_b64 v[122:123], v117 offset:15552
	s_nop 0
	v_addc_co_u32_e32 v127, vcc, 0, v121, vcc
	global_load_dwordx2 v[124:125], v[126:127], off offset:1600
	s_mov_b32 s8, 0xc000
	global_load_dwordx2 v[126:127], v[126:127], off offset:3544
	s_waitcnt vmcnt(1) lgkmcnt(0)
	v_mul_f32_e32 v113, v123, v125
	v_mul_f32_e32 v129, v122, v125
	v_fma_f32 v128, v122, v124, -v113
	v_fmac_f32_e32 v129, v123, v124
	ds_write_b64 v117, v[128:129] offset:15552
	v_add_u32_e32 v113, 0x4400, v112
	ds_read2_b64 v[122:125], v113 offset0:11 offset1:254
	s_waitcnt vmcnt(0) lgkmcnt(0)
	v_mul_f32_e32 v128, v123, v127
	v_fma_f32 v128, v122, v126, -v128
	v_mul_f32_e32 v129, v122, v127
	v_add_co_u32_e32 v122, vcc, s8, v120
	v_fmac_f32_e32 v129, v123, v126
	s_nop 0
	v_addc_co_u32_e32 v123, vcc, 0, v121, vcc
	global_load_dwordx2 v[126:127], v[122:123], off offset:1392
	s_mov_b32 s8, 0xd000
	global_load_dwordx2 v[122:123], v[122:123], off offset:3336
	s_waitcnt vmcnt(1)
	v_mul_f32_e32 v130, v125, v127
	v_mul_f32_e32 v131, v124, v127
	v_fma_f32 v130, v124, v126, -v130
	v_fmac_f32_e32 v131, v125, v126
	ds_read_b64 v[124:125], v112 offset:21384
	ds_write2_b64 v113, v[128:129], v[130:131] offset0:11 offset1:254
	s_waitcnt vmcnt(0) lgkmcnt(1)
	v_mul_f32_e32 v113, v125, v123
	v_mul_f32_e32 v127, v124, v123
	v_fma_f32 v126, v124, v122, -v113
	v_fmac_f32_e32 v127, v125, v122
	ds_write_b64 v112, v[126:127] offset:21384
	v_add_co_u32_e32 v126, vcc, s8, v120
	ds_read_b64 v[122:123], v117 offset:23328
	s_nop 0
	v_addc_co_u32_e32 v127, vcc, 0, v121, vcc
	global_load_dwordx2 v[124:125], v[126:127], off offset:1184
	s_mov_b32 s8, 0xe000
	global_load_dwordx2 v[126:127], v[126:127], off offset:3128
	v_add_co_u32_e32 v120, vcc, s8, v120
	s_waitcnt vmcnt(1) lgkmcnt(0)
	v_mul_f32_e32 v113, v123, v125
	v_mul_f32_e32 v129, v122, v125
	v_fma_f32 v128, v122, v124, -v113
	v_fmac_f32_e32 v129, v123, v124
	ds_write_b64 v117, v[128:129] offset:23328
	v_add_u32_e32 v113, 0x6280, v112
	ds_read2_b64 v[122:125], v113 offset0:7 offset1:250
	v_addc_co_u32_e32 v121, vcc, 0, v121, vcc
	s_waitcnt vmcnt(0) lgkmcnt(0)
	v_mul_f32_e32 v128, v123, v127
	v_mul_f32_e32 v129, v122, v127
	v_fma_f32 v128, v122, v126, -v128
	v_fmac_f32_e32 v129, v123, v126
	global_load_dwordx2 v[122:123], v[120:121], off offset:976
	s_waitcnt vmcnt(0)
	v_mul_f32_e32 v126, v125, v123
	global_load_dwordx2 v[120:121], v[120:121], off offset:2920
	v_mul_f32_e32 v127, v124, v123
	v_fma_f32 v126, v124, v122, -v126
	v_fmac_f32_e32 v127, v125, v122
	ds_read_b64 v[122:123], v112 offset:29160
	ds_write2_b64 v113, v[128:129], v[126:127] offset0:7 offset1:250
	s_waitcnt vmcnt(0) lgkmcnt(1)
	v_mul_f32_e32 v113, v123, v121
	v_mul_f32_e32 v125, v122, v121
	v_fma_f32 v124, v122, v120, -v113
	v_fmac_f32_e32 v125, v123, v120
	ds_write_b64 v112, v[124:125] offset:29160
.LBB0_11:
	s_or_b64 exec, exec, s[6:7]
	s_waitcnt lgkmcnt(0)
	s_barrier
	s_and_saveexec_b64 s[6:7], s[4:5]
	s_cbranch_execz .LBB0_13
; %bb.12:
	v_add_u32_e32 v12, 0xf00, v117
	ds_read2_b64 v[92:95], v12 offset0:6 offset1:249
	v_add_u32_e32 v12, 0x1e00, v117
	ds_read2_b64 v[96:99], v12 offset0:12 offset1:255
	;; [unrolled: 2-line block ×5, first 2 shown]
	v_add_u32_e32 v12, 0x5b00, v117
	v_add_u32_e32 v20, 0x6a00, v117
	ds_read2_b64 v[88:91], v117 offset1:243
	ds_read2_b64 v[12:15], v12 offset0:4 offset1:247
	ds_read2_b64 v[20:23], v20 offset0:10 offset1:253
.LBB0_13:
	s_or_b64 exec, exec, s[6:7]
	v_mov_b32_e32 v182, v16
	v_mov_b32_e32 v183, v16
	;; [unrolled: 1-line block ×96, first 2 shown]
	s_waitcnt lgkmcnt(0)
	s_barrier
	s_and_saveexec_b64 s[6:7], s[4:5]
	s_cbranch_execz .LBB0_15
; %bb.14:
	v_pk_add_f32 v[108:109], v[92:93], v[108:109] neg_lo:[0,1] neg_hi:[0,1]
	v_pk_add_f32 v[198:199], v[100:101], v[20:21] neg_lo:[0,1] neg_hi:[0,1]
	;; [unrolled: 1-line block ×4, first 2 shown]
	v_pk_fma_f32 v[12:13], v[92:93], 2.0, v[108:109] op_sel_hi:[1,0,1] neg_lo:[0,0,1] neg_hi:[0,0,1]
	v_pk_fma_f32 v[20:21], v[100:101], 2.0, v[198:199] op_sel_hi:[1,0,1] neg_lo:[0,0,1] neg_hi:[0,0,1]
	v_pk_add_f32 v[110:111], v[94:95], v[110:111] neg_lo:[0,1] neg_hi:[0,1]
	v_pk_add_f32 v[22:23], v[102:103], v[22:23] neg_lo:[0,1] neg_hi:[0,1]
	;; [unrolled: 1-line block ×5, first 2 shown]
	v_pk_fma_f32 v[20:21], v[88:89], 2.0, v[104:105] op_sel_hi:[1,0,1] neg_lo:[0,0,1] neg_hi:[0,0,1]
	v_pk_fma_f32 v[88:89], v[96:97], 2.0, v[200:201] op_sel_hi:[1,0,1] neg_lo:[0,0,1] neg_hi:[0,0,1]
	;; [unrolled: 1-line block ×3, first 2 shown]
	v_pk_add_f32 v[88:89], v[20:21], v[88:89] neg_lo:[0,1] neg_hi:[0,1]
	v_pk_fma_f32 v[94:95], v[102:103], 2.0, v[22:23] op_sel_hi:[1,0,1] neg_lo:[0,0,1] neg_hi:[0,0,1]
	v_pk_fma_f32 v[90:91], v[90:91], 2.0, v[106:107] op_sel_hi:[1,0,1] neg_lo:[0,0,1] neg_hi:[0,0,1]
	;; [unrolled: 1-line block ×3, first 2 shown]
	v_pk_add_f32 v[94:95], v[92:93], v[94:95] neg_lo:[0,1] neg_hi:[0,1]
	v_pk_add_f32 v[98:99], v[90:91], v[96:97] neg_lo:[0,1] neg_hi:[0,1]
	v_pk_fma_f32 v[20:21], v[20:21], 2.0, v[88:89] op_sel_hi:[1,0,1] neg_lo:[0,0,1] neg_hi:[0,0,1]
	v_pk_fma_f32 v[12:13], v[12:13], 2.0, v[100:101] op_sel_hi:[1,0,1] neg_lo:[0,0,1] neg_hi:[0,0,1]
	v_pk_add_f32 v[204:205], v[106:107], v[14:15] op_sel:[0,1] op_sel_hi:[1,0]
	v_pk_add_f32 v[102:103], v[20:21], v[12:13] neg_lo:[0,1] neg_hi:[0,1]
	v_pk_fma_f32 v[12:13], v[90:91], 2.0, v[98:99] op_sel_hi:[1,0,1] neg_lo:[0,0,1] neg_hi:[0,0,1]
	v_pk_fma_f32 v[90:91], v[92:93], 2.0, v[94:95] op_sel_hi:[1,0,1] neg_lo:[0,0,1] neg_hi:[0,0,1]
	v_pk_add_f32 v[92:93], v[108:109], v[198:199] op_sel:[0,1] op_sel_hi:[1,0] neg_lo:[0,1] neg_hi:[0,1]
	v_pk_add_f32 v[202:203], v[12:13], v[90:91] neg_lo:[0,1] neg_hi:[0,1]
	v_pk_add_f32 v[90:91], v[108:109], v[198:199] op_sel:[0,1] op_sel_hi:[1,0]
	v_pk_add_f32 v[198:199], v[104:105], v[200:201] op_sel:[0,1] op_sel_hi:[1,0]
	v_mov_b32_e32 v91, v93
	v_pk_add_f32 v[92:93], v[104:105], v[200:201] op_sel:[0,1] op_sel_hi:[1,0] neg_lo:[0,1] neg_hi:[0,1]
	v_pk_add_f32 v[14:15], v[106:107], v[14:15] op_sel:[0,1] op_sel_hi:[1,0] neg_lo:[0,1] neg_hi:[0,1]
	v_mov_b32_e32 v199, v93
	v_pk_add_f32 v[200:201], v[110:111], v[22:23] op_sel:[0,1] op_sel_hi:[1,0]
	v_pk_add_f32 v[22:23], v[110:111], v[22:23] op_sel:[0,1] op_sel_hi:[1,0] neg_lo:[0,1] neg_hi:[0,1]
	v_mov_b32_e32 v205, v15
	v_pk_fma_f32 v[14:15], v[108:109], 2.0, v[90:91] op_sel_hi:[1,0,1] neg_lo:[0,0,1] neg_hi:[0,0,1]
	s_mov_b32 s8, 0x3f3504f3
	v_pk_fma_f32 v[104:105], v[104:105], 2.0, v[198:199] op_sel_hi:[1,0,1] neg_lo:[0,0,1] neg_hi:[0,0,1]
	v_mov_b32_e32 v201, v23
	v_pk_mul_f32 v[22:23], v[14:15], s[8:9] op_sel_hi:[1,0]
	v_pk_fma_f32 v[14:15], v[14:15], s[8:9], v[104:105] op_sel_hi:[1,0,1] neg_lo:[1,0,0] neg_hi:[1,0,0]
	v_pk_fma_f32 v[106:107], v[106:107], 2.0, v[204:205] op_sel_hi:[1,0,1] neg_lo:[0,0,1] neg_hi:[0,0,1]
	v_pk_add_f32 v[108:109], v[14:15], v[22:23] op_sel:[0,1] op_sel_hi:[1,0]
	v_pk_add_f32 v[92:93], v[14:15], v[22:23] op_sel:[0,1] op_sel_hi:[1,0] neg_lo:[0,1] neg_hi:[0,1]
	v_pk_fma_f32 v[14:15], v[110:111], 2.0, v[200:201] op_sel_hi:[1,0,1] neg_lo:[0,0,1] neg_hi:[0,0,1]
	v_mov_b32_e32 v109, v93
	v_pk_mul_f32 v[22:23], v[14:15], s[8:9] op_sel_hi:[1,0]
	v_pk_fma_f32 v[14:15], v[14:15], s[8:9], v[106:107] op_sel_hi:[1,0,1] neg_lo:[1,0,0] neg_hi:[1,0,0]
	s_mov_b32 s16, 0x3ec3ef15
	v_pk_add_f32 v[110:111], v[14:15], v[22:23] op_sel:[0,1] op_sel_hi:[1,0]
	v_pk_add_f32 v[96:97], v[14:15], v[22:23] op_sel:[0,1] op_sel_hi:[1,0] neg_lo:[0,1] neg_hi:[0,1]
	s_mov_b32 s10, 0x3f6c835e
	v_mov_b32_e32 v111, v97
	v_pk_fma_f32 v[14:15], v[106:107], 2.0, v[110:111] op_sel_hi:[1,0,1] neg_lo:[0,0,1] neg_hi:[0,0,1]
	v_pk_fma_f32 v[22:23], v[104:105], 2.0, v[108:109] op_sel_hi:[1,0,1] neg_lo:[0,0,1] neg_hi:[0,0,1]
	v_fmamk_f32 v92, v110, 0x3ec3ef15, v108
	v_pk_mul_f32 v[104:105], v[14:15], s[16:17] op_sel_hi:[1,0]
	v_pk_fma_f32 v[106:107], v[14:15], s[10:11], v[22:23] op_sel_hi:[1,0,1] neg_lo:[1,0,0] neg_hi:[1,0,0]
	v_pk_fma_f32 v[20:21], v[20:21], 2.0, v[102:103] op_sel_hi:[1,0,1] neg_lo:[0,0,1] neg_hi:[0,0,1]
	v_pk_fma_f32 v[12:13], v[12:13], 2.0, v[202:203] op_sel_hi:[1,0,1] neg_lo:[0,0,1] neg_hi:[0,0,1]
	v_fmac_f32_e32 v92, 0x3f6c835e, v97
	v_pk_add_f32 v[14:15], v[106:107], v[104:105] op_sel:[0,1] op_sel_hi:[1,0]
	v_pk_add_f32 v[104:105], v[106:107], v[104:105] op_sel:[0,1] op_sel_hi:[1,0] neg_lo:[0,1] neg_hi:[0,1]
	v_pk_add_f32 v[12:13], v[20:21], v[12:13] neg_lo:[0,1] neg_hi:[0,1]
	v_fma_f32 v96, v108, 2.0, -v92
	v_mov_b32_e32 v15, v105
	v_pk_add_f32 v[106:107], v[88:89], v[100:101] op_sel:[0,1] op_sel_hi:[1,0]
	v_pk_add_f32 v[100:101], v[88:89], v[100:101] op_sel:[0,1] op_sel_hi:[1,0] neg_lo:[0,1] neg_hi:[0,1]
	v_pk_add_f32 v[108:109], v[98:99], v[94:95] op_sel:[0,1] op_sel_hi:[1,0]
	v_pk_add_f32 v[206:207], v[98:99], v[94:95] op_sel:[0,1] op_sel_hi:[1,0] neg_lo:[0,1] neg_hi:[0,1]
	v_lshlrev_b32_e32 v113, 3, v118
	v_pk_fma_f32 v[20:21], v[20:21], 2.0, v[12:13] op_sel_hi:[1,0,1] neg_lo:[0,0,1] neg_hi:[0,0,1]
	v_pk_fma_f32 v[22:23], v[22:23], 2.0, v[14:15] op_sel_hi:[1,0,1] neg_lo:[0,0,1] neg_hi:[0,0,1]
	v_mov_b32_e32 v107, v101
	v_mov_b32_e32 v109, v207
	ds_write_b128 v113, v[20:23]
	v_pk_fma_f32 v[20:21], v[98:99], 2.0, v[108:109] op_sel_hi:[1,0,1] neg_lo:[0,0,1] neg_hi:[0,0,1]
	v_pk_fma_f32 v[88:89], v[88:89], 2.0, v[106:107] op_sel_hi:[1,0,1] neg_lo:[0,0,1] neg_hi:[0,0,1]
	v_pk_mul_f32 v[22:23], v[20:21], s[8:9] op_sel_hi:[1,0]
	v_pk_fma_f32 v[94:95], v[20:21], s[8:9], v[88:89] op_sel_hi:[1,0,1] neg_lo:[1,0,0] neg_hi:[1,0,0]
	v_mov_b32_e32 v111, v207
	v_pk_add_f32 v[20:21], v[94:95], v[22:23] op_sel:[0,1] op_sel_hi:[1,0]
	v_pk_add_f32 v[98:99], v[94:95], v[22:23] op_sel:[0,1] op_sel_hi:[1,0] neg_lo:[0,1] neg_hi:[0,1]
	v_pk_mul_f32 v[22:23], v[90:91], s[8:9] op_sel_hi:[1,0]
	v_pk_fma_f32 v[90:91], v[90:91], s[8:9], v[198:199] op_sel_hi:[1,0,1]
	v_pk_fma_f32 v[94:95], v[200:201], s[8:9], v[204:205] op_sel_hi:[1,0,1]
	v_pk_add_f32 v[208:209], v[90:91], v[22:23] op_sel:[0,1] op_sel_hi:[1,0]
	v_pk_add_f32 v[22:23], v[90:91], v[22:23] op_sel:[0,1] op_sel_hi:[1,0] neg_lo:[0,1] neg_hi:[0,1]
	v_pk_mul_f32 v[90:91], v[200:201], s[8:9] op_sel_hi:[1,0]
	v_mov_b32_e32 v209, v23
	v_pk_add_f32 v[200:201], v[94:95], v[90:91] op_sel:[0,1] op_sel_hi:[1,0]
	v_pk_add_f32 v[90:91], v[94:95], v[90:91] op_sel:[0,1] op_sel_hi:[1,0] neg_lo:[0,1] neg_hi:[0,1]
	v_fmamk_f32 v109, v200, 0x3f6c835e, v208
	v_fmamk_f32 v15, v91, 0x3f6c835e, v23
	v_mov_b32_e32 v201, v91
	v_fmamk_f32 v98, v200, 0xbec3ef15, v15
	v_fma_f32 v100, v23, 2.0, -v98
	v_fmac_f32_e32 v109, 0x3ec3ef15, v91
	v_pk_fma_f32 v[22:23], v[204:205], 2.0, v[200:201] op_sel_hi:[1,0,1] neg_lo:[0,0,1] neg_hi:[0,0,1]
	v_pk_fma_f32 v[90:91], v[198:199], 2.0, v[208:209] op_sel_hi:[1,0,1] neg_lo:[0,0,1] neg_hi:[0,0,1]
	v_pk_mul_f32 v[94:95], v[22:23], s[10:11] op_sel_hi:[1,0]
	v_pk_fma_f32 v[198:199], v[22:23], s[16:17], v[90:91] op_sel_hi:[1,0,1] neg_lo:[1,0,0] neg_hi:[1,0,0]
	v_mov_b32_e32 v21, v99
	v_pk_add_f32 v[22:23], v[198:199], v[94:95] op_sel:[0,1] op_sel_hi:[1,0]
	v_pk_add_f32 v[198:199], v[198:199], v[94:95] op_sel:[0,1] op_sel_hi:[1,0] neg_lo:[0,1] neg_hi:[0,1]
	v_pk_fma_f32 v[88:89], v[88:89], 2.0, v[20:21] op_sel_hi:[1,0,1] neg_lo:[0,0,1] neg_hi:[0,0,1]
	v_mov_b32_e32 v23, v199
	v_pk_fma_f32 v[90:91], v[90:91], 2.0, v[22:23] op_sel_hi:[1,0,1] neg_lo:[0,0,1] neg_hi:[0,0,1]
	ds_write_b128 v113, v[88:91] offset:16
	v_pk_add_f32 v[90:91], v[102:103], v[202:203] op_sel:[0,1] op_sel_hi:[1,0]
	v_pk_add_f32 v[88:89], v[102:103], v[202:203] op_sel:[0,1] op_sel_hi:[1,0] neg_lo:[0,1] neg_hi:[0,1]
	s_mov_b32 s17, s8
	v_mov_b32_e32 v91, v89
	v_pk_fma_f32 v[94:95], v[102:103], 2.0, v[90:91] op_sel_hi:[1,0,1] neg_lo:[0,0,1] neg_hi:[0,0,1]
	ds_write_b96 v113, v[94:96] offset:32
	v_mov_b32_e32 v94, v97
	v_mov_b32_e32 v95, v108
	;; [unrolled: 1-line block ×4, first 2 shown]
	s_mov_b32 s11, s8
	v_pk_fma_f32 v[94:95], v[94:95], s[16:17], v[96:97]
	v_fmamk_f32 v15, v207, 0x3f3504f3, v101
	v_pk_fma_f32 v[102:103], v[110:111], s[10:11], v[94:95] neg_lo:[1,0,0] neg_hi:[1,0,0]
	v_pk_fma_f32 v[94:95], v[110:111], s[10:11], v[94:95]
	v_fmamk_f32 v108, v108, 0xbf3504f3, v15
	v_mov_b32_e32 v103, v95
	v_pk_fma_f32 v[94:95], v[96:97], 2.0, v[102:103] op_sel_hi:[1,0,1] neg_lo:[0,0,1] neg_hi:[0,0,1]
	ds_write2_b32 v113, v94, v95 offset0:11 offset1:12
	v_mov_b32_e32 v94, v101
	v_mov_b32_e32 v95, v208
	v_pk_fma_f32 v[94:95], v[94:95], 2.0, v[108:109] op_sel_hi:[1,0,1] neg_lo:[0,0,1] neg_hi:[0,0,1]
	v_mov_b32_e32 v15, v105
	ds_write2_b32 v113, v94, v95 offset0:13 offset1:14
	ds_write_b128 v113, v[12:15] offset:64
	ds_write_b128 v113, v[20:23] offset:80
	ds_write_b96 v113, v[90:92] offset:96
	ds_write2_b32 v113, v102, v103 offset0:27 offset1:28
	ds_write2_b32 v113, v108, v109 offset0:29 offset1:30
	ds_write2_b32 v113, v100, v98 offset0:15 offset1:31
.LBB0_15:
	s_or_b64 exec, exec, s[6:7]
	s_waitcnt lgkmcnt(0)
	s_barrier
	ds_read_b64 v[12:13], v117 offset:18144
	ds_read_b64 v[14:15], v117 offset:15552
	;; [unrolled: 1-line block ×4, first 2 shown]
	s_mov_b32 s6, 0x3f5db3d7
	s_waitcnt lgkmcnt(3)
	v_pk_mul_f32 v[16:17], v[16:17], v[12:13]
	s_waitcnt lgkmcnt(2)
	v_pk_mul_f32 v[8:9], v[8:9], v[14:15]
	v_pk_fma_f32 v[22:23], v[182:183], v[12:13], v[16:17] op_sel:[0,0,1] op_sel_hi:[1,1,0]
	v_pk_fma_f32 v[12:13], v[182:183], v[12:13], v[16:17] op_sel:[0,0,1] op_sel_hi:[1,1,0] neg_lo:[0,0,1] neg_hi:[0,0,1]
	v_pk_fma_f32 v[92:93], v[178:179], v[14:15], v[8:9] op_sel:[0,0,1] op_sel_hi:[1,1,0]
	v_pk_fma_f32 v[8:9], v[178:179], v[14:15], v[8:9] op_sel:[0,0,1] op_sel_hi:[1,1,0] neg_lo:[0,0,1] neg_hi:[0,0,1]
	v_mov_b32_e32 v23, v13
	ds_read_b64 v[12:13], v117 offset:25920
	v_mov_b32_e32 v93, v9
	ds_read_b64 v[8:9], v117 offset:23328
	ds_read_b64 v[94:95], v117 offset:10368
	s_waitcnt lgkmcnt(4)
	v_pk_mul_f32 v[4:5], v[4:5], v[90:91]
	s_waitcnt lgkmcnt(3)
	v_pk_mul_f32 v[16:17], v[18:19], v[20:21]
	v_pk_fma_f32 v[96:97], v[174:175], v[90:91], v[4:5] op_sel:[0,0,1] op_sel_hi:[1,1,0]
	v_pk_fma_f32 v[4:5], v[174:175], v[90:91], v[4:5] op_sel:[0,0,1] op_sel_hi:[1,1,0] neg_lo:[0,0,1] neg_hi:[0,0,1]
	s_waitcnt lgkmcnt(1)
	v_pk_mul_f32 v[6:7], v[6:7], v[8:9]
	v_mov_b32_e32 v97, v5
	ds_read_b64 v[4:5], v117 offset:20736
	v_pk_mul_f32 v[10:11], v[10:11], v[12:13]
	v_pk_fma_f32 v[88:89], v[180:181], v[20:21], v[16:17] op_sel:[0,0,1] op_sel_hi:[1,1,0]
	v_pk_fma_f32 v[16:17], v[180:181], v[20:21], v[16:17] op_sel:[0,0,1] op_sel_hi:[1,1,0] neg_lo:[0,0,1] neg_hi:[0,0,1]
	v_pk_fma_f32 v[14:15], v[176:177], v[12:13], v[10:11] op_sel:[0,0,1] op_sel_hi:[1,1,0]
	v_pk_fma_f32 v[10:11], v[176:177], v[12:13], v[10:11] op_sel:[0,0,1] op_sel_hi:[1,1,0] neg_lo:[0,0,1] neg_hi:[0,0,1]
	;; [unrolled: 2-line block ×3, first 2 shown]
	ds_read_b64 v[18:19], v117 offset:7776
	v_mov_b32_e32 v89, v17
	ds_read_b64 v[16:17], v117 offset:5184
	v_mov_b32_e32 v15, v11
	;; [unrolled: 2-line block ×3, first 2 shown]
	ds_read_b64 v[6:7], v117
	s_waitcnt lgkmcnt(5)
	v_pk_mul_f32 v[0:1], v[0:1], v[94:95]
	s_waitcnt lgkmcnt(0)
	v_pk_fma_f32 v[98:99], v[170:171], v[94:95], v[0:1] op_sel:[0,0,1] op_sel_hi:[1,1,0]
	v_pk_fma_f32 v[0:1], v[170:171], v[94:95], v[0:1] op_sel:[0,0,1] op_sel_hi:[1,1,0] neg_lo:[0,0,1] neg_hi:[0,0,1]
	s_barrier
	v_mov_b32_e32 v99, v1
	v_pk_mul_f32 v[0:1], v[2:3], v[4:5]
	s_nop 0
	v_pk_fma_f32 v[2:3], v[168:169], v[4:5], v[0:1] op_sel:[0,0,1] op_sel_hi:[1,1,0]
	v_pk_fma_f32 v[0:1], v[168:169], v[4:5], v[0:1] op_sel:[0,0,1] op_sel_hi:[1,1,0] neg_lo:[0,0,1] neg_hi:[0,0,1]
	v_pk_add_f32 v[8:9], v[10:11], v[96:97]
	v_mov_b32_e32 v3, v1
	v_pk_add_f32 v[0:1], v[6:7], v[98:99]
	v_pk_add_f32 v[4:5], v[98:99], v[2:3]
	;; [unrolled: 1-line block ×3, first 2 shown]
	v_pk_add_f32 v[2:3], v[98:99], v[2:3] neg_lo:[0,1] neg_hi:[0,1]
	v_pk_fma_f32 v[4:5], v[4:5], 0.5, v[6:7] op_sel_hi:[1,0,1] neg_lo:[1,0,0] neg_hi:[1,0,0]
	v_pk_mul_f32 v[2:3], v[2:3], s[6:7] op_sel_hi:[1,0]
	v_pk_add_f32 v[8:9], v[8:9], v[90:91]
	v_pk_add_f32 v[6:7], v[4:5], v[2:3] op_sel:[0,1] op_sel_hi:[1,0] neg_lo:[0,1] neg_hi:[0,1]
	v_pk_add_f32 v[2:3], v[4:5], v[2:3] op_sel:[0,1] op_sel_hi:[1,0]
	v_mov_b32_e32 v4, v6
	v_mov_b32_e32 v5, v3
	v_mov_b32_e32 v3, v7
	ds_write2_b64 v187, v[0:1], v[4:5] offset1:16
	ds_write_b64 v187, v[2:3] offset:256
	v_pk_add_f32 v[0:1], v[96:97], v[90:91]
	v_pk_add_f32 v[2:3], v[96:97], v[90:91] neg_lo:[0,1] neg_hi:[0,1]
	v_pk_fma_f32 v[0:1], v[0:1], 0.5, v[10:11] op_sel_hi:[1,0,1] neg_lo:[1,0,0] neg_hi:[1,0,0]
	v_pk_mul_f32 v[2:3], v[2:3], s[6:7] op_sel_hi:[1,0]
	v_pk_add_f32 v[12:13], v[16:17], v[92:93]
	v_pk_add_f32 v[4:5], v[0:1], v[2:3] op_sel:[0,1] op_sel_hi:[1,0] neg_lo:[0,1] neg_hi:[0,1]
	v_pk_add_f32 v[0:1], v[0:1], v[2:3] op_sel:[0,1] op_sel_hi:[1,0]
	v_mov_b32_e32 v2, v4
	v_mov_b32_e32 v3, v1
	v_mov_b32_e32 v1, v5
	ds_write2_b64 v186, v[8:9], v[2:3] offset1:16
	ds_write_b64 v186, v[0:1] offset:256
	v_pk_add_f32 v[0:1], v[92:93], v[14:15]
	v_pk_add_f32 v[2:3], v[92:93], v[14:15] neg_lo:[0,1] neg_hi:[0,1]
	v_pk_fma_f32 v[0:1], v[0:1], 0.5, v[16:17] op_sel_hi:[1,0,1] neg_lo:[1,0,0] neg_hi:[1,0,0]
	v_pk_mul_f32 v[2:3], v[2:3], s[6:7] op_sel_hi:[1,0]
	v_pk_add_f32 v[12:13], v[12:13], v[14:15]
	v_pk_add_f32 v[4:5], v[0:1], v[2:3] op_sel:[0,1] op_sel_hi:[1,0] neg_lo:[0,1] neg_hi:[0,1]
	v_pk_add_f32 v[0:1], v[0:1], v[2:3] op_sel:[0,1] op_sel_hi:[1,0]
	v_mov_b32_e32 v2, v4
	v_mov_b32_e32 v3, v1
	v_mov_b32_e32 v1, v5
	ds_write2_b64 v185, v[12:13], v[2:3] offset1:16
	ds_write_b64 v185, v[0:1] offset:256
	v_pk_add_f32 v[0:1], v[22:23], v[88:89]
	v_pk_add_f32 v[2:3], v[22:23], v[88:89] neg_lo:[0,1] neg_hi:[0,1]
	v_pk_fma_f32 v[0:1], v[0:1], 0.5, v[18:19] op_sel_hi:[1,0,1] neg_lo:[1,0,0] neg_hi:[1,0,0]
	v_pk_mul_f32 v[2:3], v[2:3], s[6:7] op_sel_hi:[1,0]
	v_pk_add_f32 v[20:21], v[18:19], v[22:23]
	v_pk_add_f32 v[4:5], v[0:1], v[2:3] op_sel:[0,1] op_sel_hi:[1,0] neg_lo:[0,1] neg_hi:[0,1]
	v_pk_add_f32 v[0:1], v[0:1], v[2:3] op_sel:[0,1] op_sel_hi:[1,0]
	v_pk_add_f32 v[20:21], v[20:21], v[88:89]
	v_mov_b32_e32 v2, v4
	v_mov_b32_e32 v3, v1
	;; [unrolled: 1-line block ×3, first 2 shown]
	ds_write2_b64 v184, v[20:21], v[2:3] offset1:16
	ds_write_b64 v184, v[0:1] offset:256
	s_waitcnt lgkmcnt(0)
	s_barrier
	ds_read_b64 v[0:1], v117 offset:18144
	ds_read_b64 v[2:3], v117 offset:15552
	;; [unrolled: 1-line block ×4, first 2 shown]
	s_waitcnt lgkmcnt(3)
	v_pk_mul_f32 v[4:5], v[40:41], v[0:1]
	s_nop 0
	v_pk_fma_f32 v[8:9], v[166:167], v[0:1], v[4:5] op_sel:[0,0,1] op_sel_hi:[1,1,0]
	v_pk_fma_f32 v[0:1], v[166:167], v[0:1], v[4:5] op_sel:[0,0,1] op_sel_hi:[1,1,0] neg_lo:[0,0,1] neg_hi:[0,0,1]
	s_waitcnt lgkmcnt(1)
	v_pk_mul_f32 v[4:5], v[42:43], v[6:7]
	v_mov_b32_e32 v9, v1
	ds_read_b64 v[0:1], v117 offset:25920
	v_pk_fma_f32 v[10:11], v[164:165], v[6:7], v[4:5] op_sel:[0,0,1] op_sel_hi:[1,1,0]
	v_pk_fma_f32 v[4:5], v[164:165], v[6:7], v[4:5] op_sel:[0,0,1] op_sel_hi:[1,1,0] neg_lo:[0,0,1] neg_hi:[0,0,1]
	v_pk_mul_f32 v[18:19], v[36:37], v[2:3]
	v_mov_b32_e32 v11, v5
	v_pk_add_f32 v[4:5], v[8:9], v[10:11]
	v_pk_add_f32 v[14:15], v[8:9], v[10:11] neg_lo:[0,1] neg_hi:[0,1]
	ds_read_b64 v[6:7], v117 offset:5184
	s_waitcnt lgkmcnt(2)
	v_pk_fma_f32 v[4:5], v[4:5], 0.5, v[12:13] op_sel_hi:[1,0,1] neg_lo:[1,0,0] neg_hi:[1,0,0]
	v_pk_mul_f32 v[14:15], v[14:15], s[6:7] op_sel_hi:[1,0]
	v_pk_fma_f32 v[20:21], v[162:163], v[2:3], v[18:19] op_sel:[0,0,1] op_sel_hi:[1,1,0]
	v_pk_fma_f32 v[2:3], v[162:163], v[2:3], v[18:19] op_sel:[0,0,1] op_sel_hi:[1,1,0] neg_lo:[0,0,1] neg_hi:[0,0,1]
	v_pk_add_f32 v[16:17], v[4:5], v[14:15] op_sel:[0,1] op_sel_hi:[1,0]
	v_pk_add_f32 v[4:5], v[4:5], v[14:15] op_sel:[0,1] op_sel_hi:[1,0] neg_lo:[0,1] neg_hi:[0,1]
	ds_read_b64 v[14:15], v117 offset:12960
	v_mov_b32_e32 v21, v3
	ds_read_b64 v[2:3], v117 offset:23328
	s_waitcnt lgkmcnt(3)
	v_pk_mul_f32 v[18:19], v[38:39], v[0:1]
	s_nop 0
	v_pk_fma_f32 v[22:23], v[160:161], v[0:1], v[18:19] op_sel:[0,0,1] op_sel_hi:[1,1,0]
	v_pk_fma_f32 v[0:1], v[160:161], v[0:1], v[18:19] op_sel:[0,0,1] op_sel_hi:[1,1,0] neg_lo:[0,0,1] neg_hi:[0,0,1]
	ds_read_b64 v[18:19], v117 offset:2592
	v_mov_b32_e32 v23, v1
	v_pk_add_f32 v[0:1], v[20:21], v[22:23]
	v_pk_add_f32 v[36:37], v[20:21], v[22:23] neg_lo:[0,1] neg_hi:[0,1]
	s_waitcnt lgkmcnt(3)
	v_pk_fma_f32 v[0:1], v[0:1], 0.5, v[6:7] op_sel_hi:[1,0,1] neg_lo:[1,0,0] neg_hi:[1,0,0]
	v_pk_mul_f32 v[36:37], v[36:37], s[6:7] op_sel_hi:[1,0]
	s_nop 0
	v_pk_add_f32 v[38:39], v[0:1], v[36:37] op_sel:[0,1] op_sel_hi:[1,0]
	v_pk_add_f32 v[0:1], v[0:1], v[36:37] op_sel:[0,1] op_sel_hi:[1,0] neg_lo:[0,1] neg_hi:[0,1]
	ds_read_b64 v[36:37], v117 offset:10368
	s_waitcnt lgkmcnt(3)
	v_pk_mul_f32 v[28:29], v[28:29], v[14:15]
	s_waitcnt lgkmcnt(0)
	v_pk_mul_f32 v[24:25], v[24:25], v[36:37]
	v_pk_fma_f32 v[40:41], v[158:159], v[14:15], v[28:29] op_sel:[0,0,1] op_sel_hi:[1,1,0]
	v_pk_fma_f32 v[14:15], v[158:159], v[14:15], v[28:29] op_sel:[0,0,1] op_sel_hi:[1,1,0] neg_lo:[0,0,1] neg_hi:[0,0,1]
	v_pk_mul_f32 v[28:29], v[30:31], v[2:3]
	v_mov_b32_e32 v41, v15
	ds_read_b64 v[14:15], v117 offset:20736
	v_pk_fma_f32 v[30:31], v[156:157], v[2:3], v[28:29] op_sel:[0,0,1] op_sel_hi:[1,1,0]
	v_pk_fma_f32 v[2:3], v[156:157], v[2:3], v[28:29] op_sel:[0,0,1] op_sel_hi:[1,1,0] neg_lo:[0,0,1] neg_hi:[0,0,1]
	ds_read_b64 v[28:29], v117
	v_mov_b32_e32 v31, v3
	v_pk_add_f32 v[2:3], v[40:41], v[30:31]
	v_pk_add_f32 v[42:43], v[40:41], v[30:31] neg_lo:[0,1] neg_hi:[0,1]
	v_pk_fma_f32 v[2:3], v[2:3], 0.5, v[18:19] op_sel_hi:[1,0,1] neg_lo:[1,0,0] neg_hi:[1,0,0]
	v_pk_mul_f32 v[42:43], v[42:43], s[6:7] op_sel_hi:[1,0]
	s_waitcnt lgkmcnt(0)
	v_pk_add_f32 v[88:89], v[2:3], v[42:43] op_sel:[0,1] op_sel_hi:[1,0]
	v_pk_add_f32 v[2:3], v[2:3], v[42:43] op_sel:[0,1] op_sel_hi:[1,0] neg_lo:[0,1] neg_hi:[0,1]
	v_pk_fma_f32 v[42:43], v[154:155], v[36:37], v[24:25] op_sel:[0,0,1] op_sel_hi:[1,1,0]
	v_pk_fma_f32 v[24:25], v[154:155], v[36:37], v[24:25] op_sel:[0,0,1] op_sel_hi:[1,1,0] neg_lo:[0,0,1] neg_hi:[0,0,1]
	s_barrier
	v_mov_b32_e32 v43, v25
	v_pk_mul_f32 v[24:25], v[26:27], v[14:15]
	s_nop 0
	v_pk_fma_f32 v[26:27], v[152:153], v[14:15], v[24:25] op_sel:[0,0,1] op_sel_hi:[1,1,0]
	v_pk_fma_f32 v[14:15], v[152:153], v[14:15], v[24:25] op_sel:[0,0,1] op_sel_hi:[1,1,0] neg_lo:[0,0,1] neg_hi:[0,0,1]
	s_nop 0
	v_mov_b32_e32 v27, v15
	v_pk_add_f32 v[14:15], v[42:43], v[26:27]
	v_pk_add_f32 v[24:25], v[42:43], v[26:27] neg_lo:[0,1] neg_hi:[0,1]
	v_pk_fma_f32 v[14:15], v[14:15], 0.5, v[28:29] op_sel_hi:[1,0,1] neg_lo:[1,0,0] neg_hi:[1,0,0]
	v_pk_mul_f32 v[24:25], v[24:25], s[6:7] op_sel_hi:[1,0]
	s_nop 0
	v_pk_add_f32 v[36:37], v[14:15], v[24:25] op_sel:[0,1] op_sel_hi:[1,0]
	v_pk_add_f32 v[14:15], v[14:15], v[24:25] op_sel:[0,1] op_sel_hi:[1,0] neg_lo:[0,1] neg_hi:[0,1]
	v_pk_add_f32 v[24:25], v[28:29], v[42:43]
	s_nop 0
	v_pk_add_f32 v[24:25], v[24:25], v[26:27]
	v_mov_b32_e32 v26, v14
	v_mov_b32_e32 v27, v37
	;; [unrolled: 1-line block ×3, first 2 shown]
	v_pk_add_f32 v[14:15], v[18:19], v[40:41]
	v_mov_b32_e32 v18, v2
	v_mov_b32_e32 v19, v89
	;; [unrolled: 1-line block ×3, first 2 shown]
	v_pk_add_f32 v[2:3], v[6:7], v[20:21]
	v_pk_add_f32 v[14:15], v[14:15], v[30:31]
	;; [unrolled: 1-line block ×3, first 2 shown]
	v_mov_b32_e32 v6, v0
	v_mov_b32_e32 v7, v39
	v_mov_b32_e32 v39, v1
	v_pk_add_f32 v[0:1], v[12:13], v[8:9]
	ds_write2_b64 v188, v[24:25], v[26:27] offset1:48
	ds_write_b64 v188, v[36:37] offset:768
	ds_write2_b64 v189, v[14:15], v[18:19] offset1:48
	ds_write_b64 v189, v[88:89] offset:768
	ds_write2_b64 v190, v[2:3], v[6:7] offset1:48
	v_pk_add_f32 v[0:1], v[0:1], v[10:11]
	v_mov_b32_e32 v2, v4
	v_mov_b32_e32 v3, v17
	;; [unrolled: 1-line block ×3, first 2 shown]
	ds_write_b64 v190, v[38:39] offset:768
	ds_write2_b64 v191, v[0:1], v[2:3] offset1:48
	ds_write_b64 v191, v[16:17] offset:768
	s_waitcnt lgkmcnt(0)
	s_barrier
	ds_read_b64 v[0:1], v117 offset:18144
	ds_read_b64 v[2:3], v117 offset:15552
	;; [unrolled: 1-line block ×4, first 2 shown]
	s_waitcnt lgkmcnt(3)
	v_pk_mul_f32 v[4:5], v[60:61], v[0:1]
	s_nop 0
	v_pk_fma_f32 v[8:9], v[150:151], v[0:1], v[4:5] op_sel:[0,0,1] op_sel_hi:[1,1,0]
	v_pk_fma_f32 v[0:1], v[150:151], v[0:1], v[4:5] op_sel:[0,0,1] op_sel_hi:[1,1,0] neg_lo:[0,0,1] neg_hi:[0,0,1]
	s_waitcnt lgkmcnt(1)
	v_pk_mul_f32 v[4:5], v[62:63], v[6:7]
	v_mov_b32_e32 v9, v1
	ds_read_b64 v[0:1], v117 offset:25920
	v_pk_fma_f32 v[10:11], v[148:149], v[6:7], v[4:5] op_sel:[0,0,1] op_sel_hi:[1,1,0]
	v_pk_fma_f32 v[4:5], v[148:149], v[6:7], v[4:5] op_sel:[0,0,1] op_sel_hi:[1,1,0] neg_lo:[0,0,1] neg_hi:[0,0,1]
	v_pk_mul_f32 v[18:19], v[48:49], v[2:3]
	v_mov_b32_e32 v11, v5
	v_pk_add_f32 v[4:5], v[8:9], v[10:11]
	v_pk_add_f32 v[14:15], v[8:9], v[10:11] neg_lo:[0,1] neg_hi:[0,1]
	ds_read_b64 v[6:7], v117 offset:5184
	s_waitcnt lgkmcnt(2)
	v_pk_fma_f32 v[4:5], v[4:5], 0.5, v[12:13] op_sel_hi:[1,0,1] neg_lo:[1,0,0] neg_hi:[1,0,0]
	v_pk_mul_f32 v[14:15], v[14:15], s[6:7] op_sel_hi:[1,0]
	v_pk_fma_f32 v[20:21], v[146:147], v[2:3], v[18:19] op_sel:[0,0,1] op_sel_hi:[1,1,0]
	v_pk_fma_f32 v[2:3], v[146:147], v[2:3], v[18:19] op_sel:[0,0,1] op_sel_hi:[1,1,0] neg_lo:[0,0,1] neg_hi:[0,0,1]
	v_pk_add_f32 v[16:17], v[4:5], v[14:15] op_sel:[0,1] op_sel_hi:[1,0]
	v_pk_add_f32 v[4:5], v[4:5], v[14:15] op_sel:[0,1] op_sel_hi:[1,0] neg_lo:[0,1] neg_hi:[0,1]
	ds_read_b64 v[14:15], v117 offset:12960
	v_mov_b32_e32 v21, v3
	ds_read_b64 v[2:3], v117 offset:23328
	s_waitcnt lgkmcnt(3)
	v_pk_mul_f32 v[18:19], v[50:51], v[0:1]
	s_nop 0
	v_pk_fma_f32 v[22:23], v[144:145], v[0:1], v[18:19] op_sel:[0,0,1] op_sel_hi:[1,1,0]
	v_pk_fma_f32 v[0:1], v[144:145], v[0:1], v[18:19] op_sel:[0,0,1] op_sel_hi:[1,1,0] neg_lo:[0,0,1] neg_hi:[0,0,1]
	ds_read_b64 v[18:19], v117 offset:2592
	v_mov_b32_e32 v23, v1
	v_pk_add_f32 v[0:1], v[20:21], v[22:23]
	v_pk_add_f32 v[24:25], v[20:21], v[22:23] neg_lo:[0,1] neg_hi:[0,1]
	s_waitcnt lgkmcnt(3)
	v_pk_fma_f32 v[0:1], v[0:1], 0.5, v[6:7] op_sel_hi:[1,0,1] neg_lo:[1,0,0] neg_hi:[1,0,0]
	v_pk_mul_f32 v[24:25], v[24:25], s[6:7] op_sel_hi:[1,0]
	s_nop 0
	v_pk_add_f32 v[26:27], v[0:1], v[24:25] op_sel:[0,1] op_sel_hi:[1,0]
	v_pk_add_f32 v[0:1], v[0:1], v[24:25] op_sel:[0,1] op_sel_hi:[1,0] neg_lo:[0,1] neg_hi:[0,1]
	ds_read_b64 v[24:25], v117 offset:10368
	s_waitcnt lgkmcnt(3)
	v_pk_mul_f32 v[28:29], v[44:45], v[14:15]
	s_waitcnt lgkmcnt(0)
	v_pk_mul_f32 v[32:33], v[32:33], v[24:25]
	v_pk_fma_f32 v[30:31], v[142:143], v[14:15], v[28:29] op_sel:[0,0,1] op_sel_hi:[1,1,0]
	v_pk_fma_f32 v[14:15], v[142:143], v[14:15], v[28:29] op_sel:[0,0,1] op_sel_hi:[1,1,0] neg_lo:[0,0,1] neg_hi:[0,0,1]
	v_pk_mul_f32 v[28:29], v[46:47], v[2:3]
	v_mov_b32_e32 v31, v15
	ds_read_b64 v[14:15], v117 offset:20736
	v_pk_fma_f32 v[36:37], v[140:141], v[2:3], v[28:29] op_sel:[0,0,1] op_sel_hi:[1,1,0]
	v_pk_fma_f32 v[2:3], v[140:141], v[2:3], v[28:29] op_sel:[0,0,1] op_sel_hi:[1,1,0] neg_lo:[0,0,1] neg_hi:[0,0,1]
	ds_read_b64 v[28:29], v117
	v_mov_b32_e32 v37, v3
	v_pk_add_f32 v[2:3], v[30:31], v[36:37]
	v_pk_add_f32 v[38:39], v[30:31], v[36:37] neg_lo:[0,1] neg_hi:[0,1]
	v_pk_fma_f32 v[2:3], v[2:3], 0.5, v[18:19] op_sel_hi:[1,0,1] neg_lo:[1,0,0] neg_hi:[1,0,0]
	v_pk_mul_f32 v[38:39], v[38:39], s[6:7] op_sel_hi:[1,0]
	s_waitcnt lgkmcnt(0)
	v_pk_add_f32 v[40:41], v[2:3], v[38:39] op_sel:[0,1] op_sel_hi:[1,0]
	v_pk_add_f32 v[2:3], v[2:3], v[38:39] op_sel:[0,1] op_sel_hi:[1,0] neg_lo:[0,1] neg_hi:[0,1]
	v_pk_fma_f32 v[38:39], v[138:139], v[24:25], v[32:33] op_sel:[0,0,1] op_sel_hi:[1,1,0]
	v_pk_fma_f32 v[24:25], v[138:139], v[24:25], v[32:33] op_sel:[0,0,1] op_sel_hi:[1,1,0] neg_lo:[0,0,1] neg_hi:[0,0,1]
	s_barrier
	v_mov_b32_e32 v39, v25
	v_pk_mul_f32 v[24:25], v[34:35], v[14:15]
	s_nop 0
	v_pk_fma_f32 v[32:33], v[136:137], v[14:15], v[24:25] op_sel:[0,0,1] op_sel_hi:[1,1,0]
	v_pk_fma_f32 v[14:15], v[136:137], v[14:15], v[24:25] op_sel:[0,0,1] op_sel_hi:[1,1,0] neg_lo:[0,0,1] neg_hi:[0,0,1]
	s_nop 0
	v_mov_b32_e32 v33, v15
	v_pk_add_f32 v[14:15], v[38:39], v[32:33]
	v_pk_add_f32 v[24:25], v[38:39], v[32:33] neg_lo:[0,1] neg_hi:[0,1]
	v_pk_fma_f32 v[14:15], v[14:15], 0.5, v[28:29] op_sel_hi:[1,0,1] neg_lo:[1,0,0] neg_hi:[1,0,0]
	v_pk_mul_f32 v[24:25], v[24:25], s[6:7] op_sel_hi:[1,0]
	s_nop 0
	v_pk_add_f32 v[34:35], v[14:15], v[24:25] op_sel:[0,1] op_sel_hi:[1,0]
	v_pk_add_f32 v[14:15], v[14:15], v[24:25] op_sel:[0,1] op_sel_hi:[1,0] neg_lo:[0,1] neg_hi:[0,1]
	v_pk_add_f32 v[24:25], v[28:29], v[38:39]
	v_mov_b32_e32 v28, v14
	v_mov_b32_e32 v29, v35
	;; [unrolled: 1-line block ×3, first 2 shown]
	v_pk_add_f32 v[14:15], v[18:19], v[30:31]
	v_mov_b32_e32 v18, v2
	v_mov_b32_e32 v19, v41
	;; [unrolled: 1-line block ×3, first 2 shown]
	v_pk_add_f32 v[2:3], v[6:7], v[20:21]
	v_pk_add_f32 v[24:25], v[24:25], v[32:33]
	;; [unrolled: 1-line block ×4, first 2 shown]
	v_mov_b32_e32 v6, v0
	v_mov_b32_e32 v7, v27
	;; [unrolled: 1-line block ×3, first 2 shown]
	v_pk_add_f32 v[0:1], v[12:13], v[8:9]
	ds_write2_b64 v192, v[24:25], v[28:29] offset1:144
	ds_write_b64 v192, v[34:35] offset:2304
	ds_write2_b64 v193, v[14:15], v[18:19] offset1:144
	ds_write_b64 v193, v[40:41] offset:2304
	ds_write2_b64 v194, v[2:3], v[6:7] offset1:144
	v_pk_add_f32 v[0:1], v[0:1], v[10:11]
	v_mov_b32_e32 v2, v4
	v_mov_b32_e32 v3, v17
	;; [unrolled: 1-line block ×3, first 2 shown]
	ds_write_b64 v194, v[26:27] offset:2304
	ds_write2_b64 v195, v[0:1], v[2:3] offset1:144
	ds_write_b64 v195, v[16:17] offset:2304
	s_waitcnt lgkmcnt(0)
	s_barrier
	ds_read_b64 v[0:1], v117
	ds_read_b64 v[2:3], v117 offset:10368
	ds_read_b64 v[4:5], v117 offset:20736
	ds_read_b64 v[6:7], v117 offset:18144
	ds_read_b64 v[8:9], v117 offset:15552
	ds_read_b64 v[10:11], v117 offset:12960
	s_waitcnt lgkmcnt(4)
	v_pk_mul_f32 v[12:13], v[68:69], v[2:3]
	s_waitcnt lgkmcnt(3)
	v_pk_mul_f32 v[18:19], v[70:71], v[4:5]
	v_pk_fma_f32 v[14:15], v[134:135], v[2:3], v[12:13] op_sel:[0,0,1] op_sel_hi:[1,1,0]
	v_pk_fma_f32 v[2:3], v[134:135], v[2:3], v[12:13] op_sel:[0,0,1] op_sel_hi:[1,1,0] neg_lo:[0,0,1] neg_hi:[0,0,1]
	s_waitcnt lgkmcnt(2)
	v_pk_mul_f32 v[26:27], v[52:53], v[6:7]
	v_mov_b32_e32 v15, v3
	ds_read_b64 v[2:3], v117 offset:28512
	ds_read_b64 v[12:13], v117 offset:25920
	;; [unrolled: 1-line block ×3, first 2 shown]
	v_pk_fma_f32 v[28:29], v[130:131], v[6:7], v[26:27] op_sel:[0,0,1] op_sel_hi:[1,1,0]
	v_pk_fma_f32 v[6:7], v[130:131], v[6:7], v[26:27] op_sel:[0,0,1] op_sel_hi:[1,1,0] neg_lo:[0,0,1] neg_hi:[0,0,1]
	v_pk_fma_f32 v[20:21], v[132:133], v[4:5], v[18:19] op_sel:[0,0,1] op_sel_hi:[1,1,0]
	v_pk_fma_f32 v[4:5], v[132:133], v[4:5], v[18:19] op_sel:[0,0,1] op_sel_hi:[1,1,0] neg_lo:[0,0,1] neg_hi:[0,0,1]
	v_mov_b32_e32 v29, v7
	s_waitcnt lgkmcnt(2)
	v_pk_mul_f32 v[6:7], v[54:55], v[2:3]
	v_mov_b32_e32 v21, v5
	ds_read_b64 v[4:5], v117 offset:7776
	ds_read_b64 v[18:19], v117 offset:5184
	;; [unrolled: 1-line block ×3, first 2 shown]
	v_pk_fma_f32 v[26:27], v[128:129], v[2:3], v[6:7] op_sel:[0,0,1] op_sel_hi:[1,1,0]
	v_pk_fma_f32 v[2:3], v[128:129], v[2:3], v[6:7] op_sel:[0,0,1] op_sel_hi:[1,1,0] neg_lo:[0,0,1] neg_hi:[0,0,1]
	v_pk_add_f32 v[24:25], v[0:1], v[14:15]
	v_mov_b32_e32 v27, v3
	v_pk_add_f32 v[2:3], v[28:29], v[26:27]
	v_pk_add_f32 v[6:7], v[28:29], v[26:27] neg_lo:[0,1] neg_hi:[0,1]
	s_waitcnt lgkmcnt(2)
	v_pk_fma_f32 v[2:3], v[2:3], 0.5, v[4:5] op_sel_hi:[1,0,1] neg_lo:[1,0,0] neg_hi:[1,0,0]
	v_pk_mul_f32 v[6:7], v[6:7], s[6:7] op_sel_hi:[1,0]
	v_pk_add_f32 v[24:25], v[24:25], v[20:21]
	v_pk_add_f32 v[30:31], v[2:3], v[6:7] op_sel:[0,1] op_sel_hi:[1,0]
	v_pk_add_f32 v[2:3], v[2:3], v[6:7] op_sel:[0,1] op_sel_hi:[1,0] neg_lo:[0,1] neg_hi:[0,1]
	v_pk_mul_f32 v[6:7], v[56:57], v[8:9]
	s_waitcnt lgkmcnt(0)
	v_pk_fma_f32 v[32:33], v[126:127], v[8:9], v[6:7] op_sel:[0,0,1] op_sel_hi:[1,1,0]
	v_pk_fma_f32 v[6:7], v[126:127], v[8:9], v[6:7] op_sel:[0,0,1] op_sel_hi:[1,1,0] neg_lo:[0,0,1] neg_hi:[0,0,1]
	s_barrier
	v_mov_b32_e32 v33, v7
	v_pk_mul_f32 v[6:7], v[58:59], v[12:13]
	s_nop 0
	v_pk_fma_f32 v[8:9], v[124:125], v[12:13], v[6:7] op_sel:[0,0,1] op_sel_hi:[1,1,0]
	v_pk_fma_f32 v[6:7], v[124:125], v[12:13], v[6:7] op_sel:[0,0,1] op_sel_hi:[1,1,0] neg_lo:[0,0,1] neg_hi:[0,0,1]
	ds_write_b64 v117, v[24:25]
	v_mov_b32_e32 v9, v7
	v_pk_add_f32 v[6:7], v[32:33], v[8:9]
	v_pk_add_f32 v[12:13], v[32:33], v[8:9] neg_lo:[0,1] neg_hi:[0,1]
	v_pk_fma_f32 v[6:7], v[6:7], 0.5, v[18:19] op_sel_hi:[1,0,1] neg_lo:[1,0,0] neg_hi:[1,0,0]
	v_pk_mul_f32 v[12:13], v[12:13], s[6:7] op_sel_hi:[1,0]
	s_nop 0
	v_pk_add_f32 v[34:35], v[6:7], v[12:13] op_sel:[0,1] op_sel_hi:[1,0]
	v_pk_add_f32 v[6:7], v[6:7], v[12:13] op_sel:[0,1] op_sel_hi:[1,0] neg_lo:[0,1] neg_hi:[0,1]
	v_pk_mul_f32 v[12:13], v[64:65], v[10:11]
	s_nop 0
	v_pk_fma_f32 v[36:37], v[122:123], v[10:11], v[12:13] op_sel:[0,0,1] op_sel_hi:[1,1,0]
	v_pk_fma_f32 v[10:11], v[122:123], v[10:11], v[12:13] op_sel:[0,0,1] op_sel_hi:[1,1,0] neg_lo:[0,0,1] neg_hi:[0,0,1]
	s_nop 0
	v_mov_b32_e32 v37, v11
	v_pk_mul_f32 v[10:11], v[66:67], v[16:17]
	s_nop 0
	v_pk_fma_f32 v[12:13], v[120:121], v[16:17], v[10:11] op_sel:[0,0,1] op_sel_hi:[1,1,0]
	v_pk_fma_f32 v[10:11], v[120:121], v[16:17], v[10:11] op_sel:[0,0,1] op_sel_hi:[1,1,0] neg_lo:[0,0,1] neg_hi:[0,0,1]
	v_pk_add_f32 v[16:17], v[14:15], v[20:21]
	v_pk_add_f32 v[14:15], v[14:15], v[20:21] neg_lo:[0,1] neg_hi:[0,1]
	v_pk_fma_f32 v[0:1], v[16:17], 0.5, v[0:1] op_sel_hi:[1,0,1] neg_lo:[1,0,0] neg_hi:[1,0,0]
	v_pk_mul_f32 v[14:15], v[14:15], s[6:7] op_sel_hi:[1,0]
	v_mov_b32_e32 v13, v11
	v_pk_add_f32 v[10:11], v[22:23], v[36:37]
	v_pk_add_f32 v[16:17], v[0:1], v[14:15] op_sel:[0,1] op_sel_hi:[1,0]
	v_pk_add_f32 v[0:1], v[0:1], v[14:15] op_sel:[0,1] op_sel_hi:[1,0] neg_lo:[0,1] neg_hi:[0,1]
	v_pk_add_f32 v[10:11], v[10:11], v[12:13]
	v_mov_b32_e32 v14, v0
	v_mov_b32_e32 v15, v17
	;; [unrolled: 1-line block ×3, first 2 shown]
	ds_write_b64 v117, v[14:15] offset:3456
	ds_write_b64 v117, v[16:17] offset:6912
	ds_write_b64 v115, v[10:11]
	v_pk_add_f32 v[0:1], v[36:37], v[12:13]
	v_pk_add_f32 v[10:11], v[36:37], v[12:13] neg_lo:[0,1] neg_hi:[0,1]
	v_pk_fma_f32 v[0:1], v[0:1], 0.5, v[22:23] op_sel_hi:[1,0,1] neg_lo:[1,0,0] neg_hi:[1,0,0]
	v_pk_mul_f32 v[10:11], v[10:11], s[6:7] op_sel_hi:[1,0]
	s_nop 0
	v_pk_add_f32 v[12:13], v[0:1], v[10:11] op_sel:[0,1] op_sel_hi:[1,0] neg_lo:[0,1] neg_hi:[0,1]
	v_pk_add_f32 v[0:1], v[0:1], v[10:11] op_sel:[0,1] op_sel_hi:[1,0]
	v_mov_b32_e32 v10, v12
	v_mov_b32_e32 v11, v1
	;; [unrolled: 1-line block ×3, first 2 shown]
	ds_write_b64 v115, v[0:1] offset:6912
	v_pk_add_f32 v[0:1], v[18:19], v[32:33]
	ds_write_b64 v115, v[10:11] offset:3456
	v_pk_add_f32 v[0:1], v[0:1], v[8:9]
	ds_write_b64 v119, v[0:1]
	v_mov_b32_e32 v0, v6
	v_mov_b32_e32 v1, v35
	ds_write_b64 v119, v[0:1] offset:3456
	v_pk_add_f32 v[0:1], v[4:5], v[28:29]
	v_mov_b32_e32 v35, v7
	v_pk_add_f32 v[0:1], v[0:1], v[26:27]
	ds_write_b64 v119, v[34:35] offset:6912
	ds_write_b64 v196, v[0:1] offset:20736
	v_mov_b32_e32 v0, v2
	v_mov_b32_e32 v1, v31
	;; [unrolled: 1-line block ×3, first 2 shown]
	ds_write_b64 v196, v[0:1] offset:24192
	ds_write_b64 v196, v[30:31] offset:27648
	s_waitcnt lgkmcnt(0)
	s_barrier
	ds_read_b64 v[0:1], v117 offset:10368
	ds_read_b64 v[2:3], v117 offset:12960
	;; [unrolled: 1-line block ×4, first 2 shown]
	s_waitcnt lgkmcnt(3)
	v_pk_mul_f32 v[8:9], v[76:77], v[0:1] op_sel:[1,0]
	s_nop 0
	v_pk_fma_f32 v[10:11], v[76:77], v[0:1], v[8:9] op_sel:[0,0,1] op_sel_hi:[1,1,0]
	v_pk_fma_f32 v[0:1], v[76:77], v[0:1], v[8:9] op_sel:[0,0,1] op_sel_hi:[0,1,0] neg_lo:[0,0,1] neg_hi:[0,0,1]
	ds_read_b64 v[8:9], v117 offset:20736
	v_mov_b32_e32 v11, v1
	ds_read_b64 v[0:1], v117 offset:23328
	ds_read_b64 v[12:13], v117 offset:25920
	;; [unrolled: 1-line block ×3, first 2 shown]
	s_waitcnt lgkmcnt(6)
	v_pk_mul_f32 v[26:27], v[72:73], v[2:3] op_sel:[1,0]
	s_waitcnt lgkmcnt(3)
	v_pk_mul_f32 v[16:17], v[78:79], v[8:9] op_sel:[1,0]
	v_pk_fma_f32 v[28:29], v[72:73], v[2:3], v[26:27] op_sel:[0,0,1] op_sel_hi:[1,1,0]
	v_pk_fma_f32 v[2:3], v[72:73], v[2:3], v[26:27] op_sel:[0,0,1] op_sel_hi:[0,1,0] neg_lo:[0,0,1] neg_hi:[0,0,1]
	v_mov_b32_e32 v29, v3
	s_waitcnt lgkmcnt(2)
	v_pk_mul_f32 v[2:3], v[74:75], v[0:1] op_sel:[1,0]
	v_pk_fma_f32 v[18:19], v[78:79], v[8:9], v[16:17] op_sel:[0,0,1] op_sel_hi:[1,1,0]
	v_pk_fma_f32 v[26:27], v[74:75], v[0:1], v[2:3] op_sel:[0,0,1] op_sel_hi:[1,1,0]
	v_pk_fma_f32 v[0:1], v[74:75], v[0:1], v[2:3] op_sel:[0,0,1] op_sel_hi:[0,1,0] neg_lo:[0,0,1] neg_hi:[0,0,1]
	v_pk_mul_f32 v[2:3], v[84:85], v[4:5] op_sel:[1,0]
	v_pk_fma_f32 v[8:9], v[78:79], v[8:9], v[16:17] op_sel:[0,0,1] op_sel_hi:[0,1,0] neg_lo:[0,0,1] neg_hi:[0,0,1]
	ds_read_b64 v[16:17], v117
	v_pk_fma_f32 v[30:31], v[84:85], v[4:5], v[2:3] op_sel:[0,0,1] op_sel_hi:[1,1,0]
	v_pk_fma_f32 v[2:3], v[84:85], v[4:5], v[2:3] op_sel:[0,0,1] op_sel_hi:[0,1,0] neg_lo:[0,0,1] neg_hi:[0,0,1]
	v_mov_b32_e32 v31, v3
	s_waitcnt lgkmcnt(2)
	v_pk_mul_f32 v[2:3], v[86:87], v[12:13] op_sel:[1,0]
	v_mov_b32_e32 v19, v9
	v_pk_fma_f32 v[4:5], v[86:87], v[12:13], v[2:3] op_sel:[0,0,1] op_sel_hi:[1,1,0]
	v_pk_fma_f32 v[2:3], v[86:87], v[12:13], v[2:3] op_sel:[0,0,1] op_sel_hi:[0,1,0] neg_lo:[0,0,1] neg_hi:[0,0,1]
	v_pk_mul_f32 v[12:13], v[80:81], v[6:7] op_sel:[1,0]
	ds_read_b64 v[8:9], v117 offset:2592
	ds_read_b64 v[20:21], v117 offset:5184
	;; [unrolled: 1-line block ×3, first 2 shown]
	v_pk_fma_f32 v[32:33], v[80:81], v[6:7], v[12:13] op_sel:[0,0,1] op_sel_hi:[1,1,0]
	v_pk_fma_f32 v[6:7], v[80:81], v[6:7], v[12:13] op_sel:[0,0,1] op_sel_hi:[0,1,0] neg_lo:[0,0,1] neg_hi:[0,0,1]
	v_mov_b32_e32 v33, v7
	s_waitcnt lgkmcnt(4)
	v_pk_mul_f32 v[6:7], v[82:83], v[14:15] op_sel:[1,0]
	s_waitcnt lgkmcnt(3)
	v_pk_add_f32 v[24:25], v[16:17], v[10:11]
	v_pk_fma_f32 v[12:13], v[82:83], v[14:15], v[6:7] op_sel:[0,0,1] op_sel_hi:[1,1,0]
	v_pk_fma_f32 v[6:7], v[82:83], v[14:15], v[6:7] op_sel:[0,0,1] op_sel_hi:[0,1,0] neg_lo:[0,0,1] neg_hi:[0,0,1]
	v_pk_add_f32 v[14:15], v[10:11], v[18:19]
	v_pk_add_f32 v[10:11], v[10:11], v[18:19] neg_lo:[0,1] neg_hi:[0,1]
	v_pk_fma_f32 v[14:15], v[14:15], 0.5, v[16:17] op_sel_hi:[1,0,1] neg_lo:[1,0,0] neg_hi:[1,0,0]
	v_pk_mul_f32 v[10:11], v[10:11], s[6:7] op_sel_hi:[1,0]
	v_mov_b32_e32 v27, v1
	s_waitcnt lgkmcnt(2)
	v_pk_add_f32 v[0:1], v[8:9], v[28:29]
	v_pk_add_f32 v[16:17], v[14:15], v[10:11] op_sel:[0,1] op_sel_hi:[1,0] neg_lo:[0,1] neg_hi:[0,1]
	v_pk_add_f32 v[10:11], v[14:15], v[10:11] op_sel:[0,1] op_sel_hi:[1,0]
	v_pk_add_f32 v[0:1], v[0:1], v[26:27]
	v_mov_b32_e32 v14, v10
	v_mov_b32_e32 v15, v17
	;; [unrolled: 1-line block ×3, first 2 shown]
	v_pk_add_f32 v[24:25], v[24:25], v[18:19]
	ds_write_b64 v117, v[14:15] offset:20736
	ds_write_b64 v117, v[16:17] offset:10368
	ds_write_b64 v117, v[24:25]
	ds_write_b64 v117, v[0:1] offset:2592
	v_pk_add_f32 v[0:1], v[28:29], v[26:27]
	v_mov_b32_e32 v5, v3
	v_pk_fma_f32 v[0:1], v[0:1], 0.5, v[8:9] op_sel_hi:[1,0,1] neg_lo:[1,0,0] neg_hi:[1,0,0]
	v_pk_add_f32 v[8:9], v[28:29], v[26:27] neg_lo:[0,1] neg_hi:[0,1]
	s_waitcnt lgkmcnt(5)
	v_pk_add_f32 v[2:3], v[20:21], v[30:31]
	v_pk_mul_f32 v[8:9], v[8:9], s[6:7] op_sel_hi:[1,0]
	v_pk_add_f32 v[2:3], v[2:3], v[4:5]
	v_pk_add_f32 v[10:11], v[0:1], v[8:9] op_sel:[0,1] op_sel_hi:[1,0] neg_lo:[0,1] neg_hi:[0,1]
	v_pk_add_f32 v[0:1], v[0:1], v[8:9] op_sel:[0,1] op_sel_hi:[1,0]
	v_mov_b32_e32 v9, v11
	v_mov_b32_e32 v8, v0
	;; [unrolled: 1-line block ×3, first 2 shown]
	ds_write_b64 v117, v[8:9] offset:23328
	ds_write_b64 v117, v[10:11] offset:12960
	;; [unrolled: 1-line block ×3, first 2 shown]
	v_pk_add_f32 v[0:1], v[30:31], v[4:5]
	v_pk_add_f32 v[2:3], v[30:31], v[4:5] neg_lo:[0,1] neg_hi:[0,1]
	v_pk_fma_f32 v[0:1], v[0:1], 0.5, v[20:21] op_sel_hi:[1,0,1] neg_lo:[1,0,0] neg_hi:[1,0,0]
	v_pk_mul_f32 v[2:3], v[2:3], s[6:7] op_sel_hi:[1,0]
	v_mov_b32_e32 v13, v7
	v_pk_add_f32 v[4:5], v[0:1], v[2:3] op_sel:[0,1] op_sel_hi:[1,0] neg_lo:[0,1] neg_hi:[0,1]
	v_pk_add_f32 v[0:1], v[0:1], v[2:3] op_sel:[0,1] op_sel_hi:[1,0]
	s_waitcnt lgkmcnt(7)
	v_pk_add_f32 v[6:7], v[22:23], v[32:33]
	v_mov_b32_e32 v2, v4
	v_mov_b32_e32 v3, v1
	v_mov_b32_e32 v1, v5
	v_pk_add_f32 v[6:7], v[6:7], v[12:13]
	ds_write_b64 v117, v[2:3] offset:15552
	ds_write_b64 v117, v[0:1] offset:25920
	;; [unrolled: 1-line block ×3, first 2 shown]
	v_pk_add_f32 v[0:1], v[32:33], v[12:13]
	v_pk_add_f32 v[2:3], v[32:33], v[12:13] neg_lo:[0,1] neg_hi:[0,1]
	v_pk_fma_f32 v[0:1], v[0:1], 0.5, v[22:23] op_sel_hi:[1,0,1] neg_lo:[1,0,0] neg_hi:[1,0,0]
	v_pk_mul_f32 v[2:3], v[2:3], s[6:7] op_sel_hi:[1,0]
	s_nop 0
	v_pk_add_f32 v[4:5], v[0:1], v[2:3] op_sel:[0,1] op_sel_hi:[1,0] neg_lo:[0,1] neg_hi:[0,1]
	v_pk_add_f32 v[0:1], v[0:1], v[2:3] op_sel:[0,1] op_sel_hi:[1,0]
	v_mov_b32_e32 v2, v4
	v_mov_b32_e32 v3, v1
	;; [unrolled: 1-line block ×3, first 2 shown]
	ds_write_b64 v117, v[2:3] offset:18144
	ds_write_b64 v117, v[0:1] offset:28512
	s_waitcnt lgkmcnt(0)
	s_barrier
	s_and_b64 exec, exec, s[4:5]
	s_cbranch_execz .LBB0_17
; %bb.16:
	global_load_dwordx2 v[4:5], v112, s[12:13]
	global_load_dwordx2 v[8:9], v112, s[12:13] offset:1944
	global_load_dwordx2 v[10:11], v112, s[12:13] offset:3888
	v_mov_b32_e32 v113, 0
	v_mad_u64_u32 v[24:25], s[4:5], s2, v116, 0
	s_movk_i32 s2, 0x1000
	v_lshl_add_u64 v[0:1], s[12:13], 0, v[112:113]
	v_add_co_u32_e32 v18, vcc, s2, v0
	s_movk_i32 s8, 0x2000
	s_nop 0
	v_addc_co_u32_e32 v19, vcc, 0, v1, vcc
	global_load_dwordx2 v[2:3], v[18:19], off offset:1736
	ds_read_b64 v[28:29], v117
	ds_read_b64 v[12:13], v117 offset:7776
	ds_read_b64 v[6:7], v117 offset:15552
	;; [unrolled: 1-line block ×3, first 2 shown]
	global_load_dwordx2 v[32:33], v[18:19], off offset:3680
	v_mad_u64_u32 v[26:27], s[6:7], s0, v114, 0
	v_add_co_u32_e32 v36, vcc, s8, v0
	s_movk_i32 s9, 0x3000
	v_mov_b32_e32 v30, v25
	v_mov_b32_e32 v34, v27
	v_addc_co_u32_e32 v37, vcc, 0, v1, vcc
	v_add_u32_e32 v17, 0x780, v112
	v_mad_u64_u32 v[30:31], s[6:7], s3, v116, v[30:31]
	v_mad_u64_u32 v[34:35], s[6:7], s1, v114, v[34:35]
	v_add_co_u32_e32 v38, vcc, s9, v0
	ds_read2_b64 v[18:21], v17 offset0:3 offset1:246
	s_nop 0
	v_addc_co_u32_e32 v39, vcc, 0, v1, vcc
	v_mov_b32_e32 v25, v30
	v_mov_b32_e32 v27, v34
	global_load_dwordx2 v[30:31], v[36:37], off offset:1528
	global_load_dwordx2 v[34:35], v[36:37], off offset:3472
	;; [unrolled: 1-line block ×3, first 2 shown]
	v_mov_b32_e32 v22, s14
	v_mov_b32_e32 v23, s15
	v_lshl_add_u64 v[22:23], v[24:25], 3, v[22:23]
	s_mov_b32 s4, 0xa88f4696
	v_lshl_add_u64 v[22:23], v[26:27], 3, v[22:23]
	s_mov_b32 s5, 0x3f30db20
	v_mov_b32_e32 v16, 0x798
	s_mul_i32 s2, s1, 0x798
	v_mad_u64_u32 v[24:25], s[6:7], s0, v16, v[22:23]
	v_add_u32_e32 v25, s2, v25
	s_movk_i32 s1, 0x4000
	s_waitcnt vmcnt(7) lgkmcnt(4)
	v_mul_f32_e32 v17, v29, v5
	v_mul_f32_e32 v5, v28, v5
	s_waitcnt vmcnt(6) lgkmcnt(0)
	v_mul_f32_e32 v26, v19, v9
	v_mul_f32_e32 v9, v18, v9
	v_fmac_f32_e32 v17, v28, v4
	v_fma_f32 v28, v4, v29, -v5
	s_waitcnt vmcnt(5)
	v_mul_f32_e32 v27, v21, v11
	v_mul_f32_e32 v11, v20, v11
	v_fmac_f32_e32 v26, v18, v8
	v_fma_f32 v18, v8, v19, -v9
	v_cvt_f64_f32_e32 v[4:5], v17
	v_cvt_f64_f32_e32 v[8:9], v28
	v_fmac_f32_e32 v27, v20, v10
	v_fma_f32 v29, v10, v21, -v11
	v_cvt_f64_f32_e32 v[10:11], v26
	v_cvt_f64_f32_e32 v[18:19], v18
	v_mul_f64 v[4:5], v[4:5], s[4:5]
	v_mul_f64 v[8:9], v[8:9], s[4:5]
	v_cvt_f64_f32_e32 v[20:21], v27
	v_cvt_f64_f32_e32 v[26:27], v29
	v_mul_f64 v[10:11], v[10:11], s[4:5]
	v_mul_f64 v[18:19], v[18:19], s[4:5]
	v_cvt_f32_f64_e32 v4, v[4:5]
	v_cvt_f32_f64_e32 v5, v[8:9]
	v_mul_f64 v[20:21], v[20:21], s[4:5]
	v_mul_f64 v[26:27], v[26:27], s[4:5]
	v_cvt_f32_f64_e32 v8, v[10:11]
	v_cvt_f32_f64_e32 v9, v[18:19]
	global_store_dwordx2 v[22:23], v[4:5], off
	global_store_dwordx2 v[24:25], v[8:9], off
	v_mad_u64_u32 v[4:5], s[6:7], s0, v16, v[24:25]
	v_cvt_f32_f64_e32 v10, v[20:21]
	v_cvt_f32_f64_e32 v11, v[26:27]
	v_add_u32_e32 v5, s2, v5
	ds_read_b64 v[8:9], v112 offset:5832
	global_store_dwordx2 v[4:5], v[10:11], off
	ds_read_b64 v[10:11], v112 offset:13608
	ds_read_b64 v[18:19], v112 offset:21384
	;; [unrolled: 1-line block ×3, first 2 shown]
	global_load_dwordx2 v[24:25], v[38:39], off offset:3264
	s_waitcnt vmcnt(8) lgkmcnt(3)
	v_mul_f32_e32 v17, v9, v3
	v_mul_f32_e32 v3, v8, v3
	v_fmac_f32_e32 v17, v8, v2
	v_fma_f32 v2, v2, v9, -v3
	v_cvt_f64_f32_e32 v[22:23], v17
	v_cvt_f64_f32_e32 v[2:3], v2
	v_mul_f64 v[22:23], v[22:23], s[4:5]
	v_mul_f64 v[2:3], v[2:3], s[4:5]
	v_cvt_f32_f64_e32 v22, v[22:23]
	v_cvt_f32_f64_e32 v23, v[2:3]
	s_waitcnt vmcnt(7)
	v_mul_f32_e32 v2, v13, v33
	v_fmac_f32_e32 v2, v12, v32
	v_mad_u64_u32 v[8:9], s[6:7], s0, v16, v[4:5]
	v_cvt_f64_f32_e32 v[2:3], v2
	v_add_u32_e32 v9, s2, v9
	v_mul_f64 v[2:3], v[2:3], s[4:5]
	global_store_dwordx2 v[8:9], v[22:23], off
	v_add_co_u32_e32 v22, vcc, s1, v0
	v_cvt_f32_f64_e32 v28, v[2:3]
	v_mul_f32_e32 v2, v12, v33
	v_addc_co_u32_e32 v23, vcc, 0, v1, vcc
	v_fma_f32 v2, v32, v13, -v2
	global_load_dwordx2 v[26:27], v[22:23], off offset:1112
	global_load_dwordx2 v[12:13], v[22:23], off offset:3056
	v_cvt_f64_f32_e32 v[2:3], v2
	v_mul_f64 v[2:3], v[2:3], s[4:5]
	v_cvt_f32_f64_e32 v29, v[2:3]
	v_add_u32_e32 v2, 0x25c0, v112
	ds_read2_b64 v[2:5], v2 offset0:7 offset1:250
	v_mad_u64_u32 v[8:9], s[6:7], s0, v16, v[8:9]
	v_add_u32_e32 v9, s2, v9
	s_movk_i32 s1, 0x5000
	global_store_dwordx2 v[8:9], v[28:29], off
	s_waitcnt vmcnt(10) lgkmcnt(0)
	v_mul_f32_e32 v17, v3, v31
	v_add_co_u32_e32 v28, vcc, s1, v0
	v_fmac_f32_e32 v17, v2, v30
	v_mul_f32_e32 v2, v2, v31
	v_addc_co_u32_e32 v29, vcc, 0, v1, vcc
	v_fma_f32 v2, v30, v3, -v2
	global_load_dwordx2 v[30:31], v[28:29], off offset:904
	v_cvt_f64_f32_e32 v[22:23], v17
	v_cvt_f64_f32_e32 v[2:3], v2
	v_mul_f64 v[22:23], v[22:23], s[4:5]
	v_mul_f64 v[2:3], v[2:3], s[4:5]
	v_cvt_f32_f64_e32 v22, v[22:23]
	v_cvt_f32_f64_e32 v23, v[2:3]
	v_mad_u64_u32 v[2:3], s[6:7], s0, v16, v[8:9]
	s_waitcnt vmcnt(10)
	v_mul_f32_e32 v8, v5, v35
	v_fmac_f32_e32 v8, v4, v34
	v_mul_f32_e32 v4, v4, v35
	v_fma_f32 v4, v34, v5, -v4
	v_cvt_f64_f32_e32 v[8:9], v8
	v_cvt_f64_f32_e32 v[4:5], v4
	v_mul_f64 v[8:9], v[8:9], s[4:5]
	v_mul_f64 v[4:5], v[4:5], s[4:5]
	v_cvt_f32_f64_e32 v8, v[8:9]
	v_cvt_f32_f64_e32 v9, v[4:5]
	s_waitcnt vmcnt(9)
	v_mul_f32_e32 v4, v11, v41
	v_fmac_f32_e32 v4, v10, v40
	v_cvt_f64_f32_e32 v[4:5], v4
	v_add_u32_e32 v3, s2, v3
	v_mul_f64 v[4:5], v[4:5], s[4:5]
	global_store_dwordx2 v[2:3], v[22:23], off
	v_mad_u64_u32 v[2:3], s[6:7], s0, v16, v[2:3]
	v_cvt_f32_f64_e32 v4, v[4:5]
	v_mul_f32_e32 v5, v10, v41
	v_add_u32_e32 v3, s2, v3
	v_fma_f32 v5, v40, v11, -v5
	global_store_dwordx2 v[2:3], v[8:9], off
	v_cvt_f64_f32_e32 v[8:9], v5
	v_mul_f64 v[8:9], v[8:9], s[4:5]
	v_cvt_f32_f64_e32 v5, v[8:9]
	v_mad_u64_u32 v[8:9], s[6:7], s0, v16, v[2:3]
	s_waitcnt vmcnt(7)
	v_mul_f32_e32 v2, v7, v25
	v_fmac_f32_e32 v2, v6, v24
	v_cvt_f64_f32_e32 v[2:3], v2
	v_mul_f64 v[2:3], v[2:3], s[4:5]
	v_cvt_f32_f64_e32 v10, v[2:3]
	v_mul_f32_e32 v2, v6, v25
	v_fma_f32 v2, v24, v7, -v2
	v_cvt_f64_f32_e32 v[2:3], v2
	v_mul_f64 v[2:3], v[2:3], s[4:5]
	v_add_u32_e32 v9, s2, v9
	v_cvt_f32_f64_e32 v11, v[2:3]
	v_add_u32_e32 v2, 0x4400, v112
	global_store_dwordx2 v[8:9], v[4:5], off
	ds_read2_b64 v[2:5], v2 offset0:11 offset1:254
	v_mad_u64_u32 v[6:7], s[6:7], s0, v16, v[8:9]
	v_add_u32_e32 v7, s2, v7
	global_store_dwordx2 v[6:7], v[10:11], off
	s_movk_i32 s1, 0x6000
	s_waitcnt vmcnt(7) lgkmcnt(0)
	v_mul_f32_e32 v8, v3, v27
	v_fmac_f32_e32 v8, v2, v26
	v_mul_f32_e32 v2, v2, v27
	v_fma_f32 v2, v26, v3, -v2
	v_cvt_f64_f32_e32 v[8:9], v8
	v_cvt_f64_f32_e32 v[2:3], v2
	v_mul_f64 v[8:9], v[8:9], s[4:5]
	v_mul_f64 v[2:3], v[2:3], s[4:5]
	v_cvt_f32_f64_e32 v8, v[8:9]
	v_cvt_f32_f64_e32 v9, v[2:3]
	v_mad_u64_u32 v[2:3], s[6:7], s0, v16, v[6:7]
	s_waitcnt vmcnt(6)
	v_mul_f32_e32 v6, v5, v13
	v_fmac_f32_e32 v6, v4, v12
	v_mul_f32_e32 v4, v4, v13
	v_fma_f32 v4, v12, v5, -v4
	v_cvt_f64_f32_e32 v[6:7], v6
	v_cvt_f64_f32_e32 v[4:5], v4
	v_mul_f64 v[6:7], v[6:7], s[4:5]
	v_mul_f64 v[4:5], v[4:5], s[4:5]
	v_cvt_f32_f64_e32 v6, v[6:7]
	v_cvt_f32_f64_e32 v7, v[4:5]
	s_waitcnt vmcnt(4)
	v_mul_f32_e32 v4, v19, v31
	v_fmac_f32_e32 v4, v18, v30
	v_cvt_f64_f32_e32 v[4:5], v4
	v_add_u32_e32 v3, s2, v3
	v_mul_f64 v[4:5], v[4:5], s[4:5]
	global_store_dwordx2 v[2:3], v[8:9], off
	v_mad_u64_u32 v[2:3], s[6:7], s0, v16, v[2:3]
	v_cvt_f32_f64_e32 v4, v[4:5]
	v_mul_f32_e32 v5, v18, v31
	v_add_u32_e32 v3, s2, v3
	v_fma_f32 v5, v30, v19, -v5
	global_store_dwordx2 v[2:3], v[6:7], off
	v_cvt_f64_f32_e32 v[6:7], v5
	v_mul_f64 v[6:7], v[6:7], s[4:5]
	v_mad_u64_u32 v[2:3], s[6:7], s0, v16, v[2:3]
	v_cvt_f32_f64_e32 v5, v[6:7]
	v_add_u32_e32 v3, s2, v3
	global_store_dwordx2 v[2:3], v[4:5], off
	global_load_dwordx2 v[4:5], v[28:29], off offset:2848
	v_mad_u64_u32 v[8:9], s[6:7], s0, v16, v[2:3]
	v_add_u32_e32 v9, s2, v9
	v_add_u32_e32 v2, 0x6280, v112
	s_waitcnt vmcnt(0)
	v_mul_f32_e32 v6, v15, v5
	v_mul_f32_e32 v5, v14, v5
	v_fmac_f32_e32 v6, v14, v4
	v_fma_f32 v4, v4, v15, -v5
	v_cvt_f64_f32_e32 v[6:7], v6
	v_cvt_f64_f32_e32 v[4:5], v4
	v_mul_f64 v[6:7], v[6:7], s[4:5]
	v_mul_f64 v[4:5], v[4:5], s[4:5]
	v_cvt_f32_f64_e32 v6, v[6:7]
	v_cvt_f32_f64_e32 v7, v[4:5]
	global_store_dwordx2 v[8:9], v[6:7], off
	v_add_co_u32_e32 v6, vcc, s1, v0
	ds_read2_b64 v[2:5], v2 offset0:7 offset1:250
	s_nop 0
	v_addc_co_u32_e32 v7, vcc, 0, v1, vcc
	global_load_dwordx2 v[10:11], v[6:7], off offset:696
	s_movk_i32 s1, 0x7000
	v_add_co_u32_e32 v0, vcc, s1, v0
	s_waitcnt vmcnt(0) lgkmcnt(0)
	v_mul_f32_e32 v12, v3, v11
	v_fmac_f32_e32 v12, v2, v10
	v_mul_f32_e32 v2, v2, v11
	v_fma_f32 v2, v10, v3, -v2
	v_cvt_f64_f32_e32 v[12:13], v12
	v_cvt_f64_f32_e32 v[2:3], v2
	v_mul_f64 v[12:13], v[12:13], s[4:5]
	v_mul_f64 v[2:3], v[2:3], s[4:5]
	v_cvt_f32_f64_e32 v12, v[12:13]
	v_cvt_f32_f64_e32 v13, v[2:3]
	v_mad_u64_u32 v[2:3], s[6:7], s0, v16, v[8:9]
	v_add_u32_e32 v3, s2, v3
	global_store_dwordx2 v[2:3], v[12:13], off
	global_load_dwordx2 v[6:7], v[6:7], off offset:2640
	v_mad_u64_u32 v[2:3], s[6:7], s0, v16, v[2:3]
	v_add_u32_e32 v3, s2, v3
	v_addc_co_u32_e32 v1, vcc, 0, v1, vcc
	s_waitcnt vmcnt(0)
	v_mul_f32_e32 v8, v5, v7
	v_mul_f32_e32 v7, v4, v7
	v_fmac_f32_e32 v8, v4, v6
	v_fma_f32 v6, v6, v5, -v7
	v_cvt_f64_f32_e32 v[4:5], v8
	v_cvt_f64_f32_e32 v[6:7], v6
	v_mul_f64 v[4:5], v[4:5], s[4:5]
	v_mul_f64 v[6:7], v[6:7], s[4:5]
	v_cvt_f32_f64_e32 v4, v[4:5]
	v_cvt_f32_f64_e32 v5, v[6:7]
	global_store_dwordx2 v[2:3], v[4:5], off
	global_load_dwordx2 v[0:1], v[0:1], off offset:488
	v_mad_u64_u32 v[2:3], s[0:1], s0, v16, v[2:3]
	v_add_u32_e32 v3, s2, v3
	s_waitcnt vmcnt(0)
	v_mul_f32_e32 v4, v21, v1
	v_mul_f32_e32 v1, v20, v1
	v_fmac_f32_e32 v4, v20, v0
	v_fma_f32 v5, v0, v21, -v1
	v_cvt_f64_f32_e32 v[0:1], v4
	v_cvt_f64_f32_e32 v[4:5], v5
	v_mul_f64 v[0:1], v[0:1], s[4:5]
	v_mul_f64 v[4:5], v[4:5], s[4:5]
	v_cvt_f32_f64_e32 v0, v[0:1]
	v_cvt_f32_f64_e32 v1, v[4:5]
	global_store_dwordx2 v[2:3], v[0:1], off
.LBB0_17:
	s_endpgm
	.section	.rodata,"a",@progbits
	.p2align	6, 0x0
	.amdhsa_kernel bluestein_single_fwd_len3888_dim1_sp_op_CI_CI
		.amdhsa_group_segment_fixed_size 31104
		.amdhsa_private_segment_fixed_size 0
		.amdhsa_kernarg_size 104
		.amdhsa_user_sgpr_count 2
		.amdhsa_user_sgpr_dispatch_ptr 0
		.amdhsa_user_sgpr_queue_ptr 0
		.amdhsa_user_sgpr_kernarg_segment_ptr 1
		.amdhsa_user_sgpr_dispatch_id 0
		.amdhsa_user_sgpr_kernarg_preload_length 0
		.amdhsa_user_sgpr_kernarg_preload_offset 0
		.amdhsa_user_sgpr_private_segment_size 0
		.amdhsa_uses_dynamic_stack 0
		.amdhsa_enable_private_segment 0
		.amdhsa_system_sgpr_workgroup_id_x 1
		.amdhsa_system_sgpr_workgroup_id_y 0
		.amdhsa_system_sgpr_workgroup_id_z 0
		.amdhsa_system_sgpr_workgroup_info 0
		.amdhsa_system_vgpr_workitem_id 0
		.amdhsa_next_free_vgpr 210
		.amdhsa_next_free_sgpr 18
		.amdhsa_accum_offset 212
		.amdhsa_reserve_vcc 1
		.amdhsa_float_round_mode_32 0
		.amdhsa_float_round_mode_16_64 0
		.amdhsa_float_denorm_mode_32 3
		.amdhsa_float_denorm_mode_16_64 3
		.amdhsa_dx10_clamp 1
		.amdhsa_ieee_mode 1
		.amdhsa_fp16_overflow 0
		.amdhsa_tg_split 0
		.amdhsa_exception_fp_ieee_invalid_op 0
		.amdhsa_exception_fp_denorm_src 0
		.amdhsa_exception_fp_ieee_div_zero 0
		.amdhsa_exception_fp_ieee_overflow 0
		.amdhsa_exception_fp_ieee_underflow 0
		.amdhsa_exception_fp_ieee_inexact 0
		.amdhsa_exception_int_div_zero 0
	.end_amdhsa_kernel
	.text
.Lfunc_end0:
	.size	bluestein_single_fwd_len3888_dim1_sp_op_CI_CI, .Lfunc_end0-bluestein_single_fwd_len3888_dim1_sp_op_CI_CI
                                        ; -- End function
	.section	.AMDGPU.csdata,"",@progbits
; Kernel info:
; codeLenInByte = 15616
; NumSgprs: 24
; NumVgprs: 210
; NumAgprs: 0
; TotalNumVgprs: 210
; ScratchSize: 0
; MemoryBound: 0
; FloatMode: 240
; IeeeMode: 1
; LDSByteSize: 31104 bytes/workgroup (compile time only)
; SGPRBlocks: 2
; VGPRBlocks: 26
; NumSGPRsForWavesPerEU: 24
; NumVGPRsForWavesPerEU: 210
; AccumOffset: 212
; Occupancy: 2
; WaveLimiterHint : 1
; COMPUTE_PGM_RSRC2:SCRATCH_EN: 0
; COMPUTE_PGM_RSRC2:USER_SGPR: 2
; COMPUTE_PGM_RSRC2:TRAP_HANDLER: 0
; COMPUTE_PGM_RSRC2:TGID_X_EN: 1
; COMPUTE_PGM_RSRC2:TGID_Y_EN: 0
; COMPUTE_PGM_RSRC2:TGID_Z_EN: 0
; COMPUTE_PGM_RSRC2:TIDIG_COMP_CNT: 0
; COMPUTE_PGM_RSRC3_GFX90A:ACCUM_OFFSET: 52
; COMPUTE_PGM_RSRC3_GFX90A:TG_SPLIT: 0
	.text
	.p2alignl 6, 3212836864
	.fill 256, 4, 3212836864
	.type	__hip_cuid_57eebd5dcda48b47,@object ; @__hip_cuid_57eebd5dcda48b47
	.section	.bss,"aw",@nobits
	.globl	__hip_cuid_57eebd5dcda48b47
__hip_cuid_57eebd5dcda48b47:
	.byte	0                               ; 0x0
	.size	__hip_cuid_57eebd5dcda48b47, 1

	.ident	"AMD clang version 19.0.0git (https://github.com/RadeonOpenCompute/llvm-project roc-6.4.0 25133 c7fe45cf4b819c5991fe208aaa96edf142730f1d)"
	.section	".note.GNU-stack","",@progbits
	.addrsig
	.addrsig_sym __hip_cuid_57eebd5dcda48b47
	.amdgpu_metadata
---
amdhsa.kernels:
  - .agpr_count:     0
    .args:
      - .actual_access:  read_only
        .address_space:  global
        .offset:         0
        .size:           8
        .value_kind:     global_buffer
      - .actual_access:  read_only
        .address_space:  global
        .offset:         8
        .size:           8
        .value_kind:     global_buffer
      - .actual_access:  read_only
        .address_space:  global
        .offset:         16
        .size:           8
        .value_kind:     global_buffer
      - .actual_access:  read_only
        .address_space:  global
        .offset:         24
        .size:           8
        .value_kind:     global_buffer
      - .actual_access:  read_only
        .address_space:  global
        .offset:         32
        .size:           8
        .value_kind:     global_buffer
      - .offset:         40
        .size:           8
        .value_kind:     by_value
      - .address_space:  global
        .offset:         48
        .size:           8
        .value_kind:     global_buffer
      - .address_space:  global
        .offset:         56
        .size:           8
        .value_kind:     global_buffer
      - .address_space:  global
        .offset:         64
        .size:           8
        .value_kind:     global_buffer
      - .address_space:  global
        .offset:         72
        .size:           8
        .value_kind:     global_buffer
      - .offset:         80
        .size:           4
        .value_kind:     by_value
      - .address_space:  global
        .offset:         88
        .size:           8
        .value_kind:     global_buffer
      - .address_space:  global
        .offset:         96
        .size:           8
        .value_kind:     global_buffer
    .group_segment_fixed_size: 31104
    .kernarg_segment_align: 8
    .kernarg_segment_size: 104
    .language:       OpenCL C
    .language_version:
      - 2
      - 0
    .max_flat_workgroup_size: 324
    .name:           bluestein_single_fwd_len3888_dim1_sp_op_CI_CI
    .private_segment_fixed_size: 0
    .sgpr_count:     24
    .sgpr_spill_count: 0
    .symbol:         bluestein_single_fwd_len3888_dim1_sp_op_CI_CI.kd
    .uniform_work_group_size: 1
    .uses_dynamic_stack: false
    .vgpr_count:     210
    .vgpr_spill_count: 0
    .wavefront_size: 64
amdhsa.target:   amdgcn-amd-amdhsa--gfx950
amdhsa.version:
  - 1
  - 2
...

	.end_amdgpu_metadata
